;; amdgpu-corpus repo=ROCm/rocFFT kind=compiled arch=gfx906 opt=O3
	.text
	.amdgcn_target "amdgcn-amd-amdhsa--gfx906"
	.amdhsa_code_object_version 6
	.protected	bluestein_single_fwd_len1764_dim1_sp_op_CI_CI ; -- Begin function bluestein_single_fwd_len1764_dim1_sp_op_CI_CI
	.globl	bluestein_single_fwd_len1764_dim1_sp_op_CI_CI
	.p2align	8
	.type	bluestein_single_fwd_len1764_dim1_sp_op_CI_CI,@function
bluestein_single_fwd_len1764_dim1_sp_op_CI_CI: ; @bluestein_single_fwd_len1764_dim1_sp_op_CI_CI
; %bb.0:
	s_load_dwordx4 s[16:19], s[4:5], 0x28
	v_mul_u32_u24_e32 v1, 0x209, v0
	v_add_u32_sdwa v112, s6, v1 dst_sel:DWORD dst_unused:UNUSED_PAD src0_sel:DWORD src1_sel:WORD_1
	v_mov_b32_e32 v113, 0
	s_waitcnt lgkmcnt(0)
	v_cmp_gt_u64_e32 vcc, s[16:17], v[112:113]
	s_and_saveexec_b64 s[0:1], vcc
	s_cbranch_execz .LBB0_18
; %bb.1:
	s_load_dwordx4 s[0:3], s[4:5], 0x18
	s_load_dwordx4 s[12:15], s[4:5], 0x0
	s_waitcnt lgkmcnt(0)
	s_load_dwordx4 s[8:11], s[0:1], 0x0
	s_movk_i32 s0, 0x7e
	v_mul_lo_u16_sdwa v1, v1, s0 dst_sel:DWORD dst_unused:UNUSED_PAD src0_sel:WORD_1 src1_sel:DWORD
	v_sub_u16_e32 v137, v0, v1
	v_lshlrev_b32_e32 v138, 3, v137
	s_waitcnt lgkmcnt(0)
	v_mad_u64_u32 v[0:1], s[6:7], s10, v112, 0
	v_mad_u64_u32 v[2:3], s[6:7], s8, v137, 0
	s_mul_i32 s1, s9, 0x1b90
	v_add_u32_e32 v32, 0x1c00, v138
	v_mad_u64_u32 v[4:5], s[6:7], s11, v112, v[1:2]
	v_add_u32_e32 v33, 0x400, v138
	v_add_u32_e32 v34, 0x2400, v138
	v_mad_u64_u32 v[5:6], s[6:7], s9, v137, v[3:4]
	v_mov_b32_e32 v1, v4
	v_lshlrev_b64 v[0:1], 3, v[0:1]
	v_mov_b32_e32 v6, s19
	v_mov_b32_e32 v3, v5
	v_add_co_u32_e32 v4, vcc, s18, v0
	v_addc_co_u32_e32 v5, vcc, v6, v1, vcc
	v_lshlrev_b64 v[0:1], 3, v[2:3]
	v_mov_b32_e32 v2, s13
	v_add_co_u32_e32 v0, vcc, v4, v0
	v_addc_co_u32_e32 v1, vcc, v5, v1, vcc
	v_add_co_u32_e32 v30, vcc, s12, v138
	s_mul_hi_u32 s6, s8, 0x1b90
	v_addc_co_u32_e32 v31, vcc, 0, v2, vcc
	s_add_i32 s1, s6, s1
	s_mul_i32 s6, s8, 0x1b90
	v_mov_b32_e32 v3, s1
	v_add_co_u32_e32 v2, vcc, s6, v0
	v_addc_co_u32_e32 v3, vcc, v1, v3, vcc
	s_movk_i32 s7, 0x1000
	global_load_dwordx2 v[4:5], v[0:1], off
	global_load_dwordx2 v[6:7], v[2:3], off
	v_add_co_u32_e32 v0, vcc, s7, v30
	s_mul_i32 s7, s9, 0xffffe860
	s_mul_hi_u32 s9, s8, 0xffffe860
	s_sub_i32 s9, s9, s8
	v_addc_co_u32_e32 v1, vcc, 0, v31, vcc
	s_add_i32 s7, s9, s7
	s_mulk_i32 s8, 0xe860
	v_mov_b32_e32 v8, s7
	v_add_co_u32_e32 v2, vcc, s8, v2
	v_addc_co_u32_e32 v3, vcc, v3, v8, vcc
	v_mov_b32_e32 v9, s1
	v_add_co_u32_e32 v8, vcc, s6, v2
	v_addc_co_u32_e32 v9, vcc, v3, v9, vcc
	v_mov_b32_e32 v11, s7
	v_add_co_u32_e32 v10, vcc, s8, v8
	v_addc_co_u32_e32 v11, vcc, v9, v11, vcc
	global_load_dwordx2 v[123:124], v138, s[12:13]
	global_load_dwordx2 v[117:118], v138, s[12:13] offset:1008
	global_load_dwordx2 v[121:122], v[0:1], off offset:2960
	global_load_dwordx2 v[113:114], v[0:1], off offset:3968
	global_load_dwordx2 v[12:13], v[2:3], off
	global_load_dwordx2 v[14:15], v[8:9], off
	global_load_dwordx2 v[16:17], v[10:11], off
	v_mov_b32_e32 v3, s1
	v_add_co_u32_e32 v2, vcc, s6, v10
	v_addc_co_u32_e32 v3, vcc, v11, v3, vcc
	s_movk_i32 s9, 0x2000
	v_add_co_u32_e32 v10, vcc, s9, v30
	v_addc_co_u32_e32 v11, vcc, 0, v31, vcc
	global_load_dwordx2 v[8:9], v[2:3], off
	v_mov_b32_e32 v18, s7
	v_add_co_u32_e32 v2, vcc, s8, v2
	v_addc_co_u32_e32 v3, vcc, v3, v18, vcc
	global_load_dwordx2 v[110:111], v[10:11], off offset:880
	global_load_dwordx2 v[18:19], v[2:3], off
	global_load_dwordx2 v[119:120], v138, s[12:13] offset:2016
	global_load_dwordx2 v[108:109], v138, s[12:13] offset:3024
	v_mov_b32_e32 v20, s1
	v_add_co_u32_e32 v2, vcc, s6, v2
	v_addc_co_u32_e32 v3, vcc, v3, v20, vcc
	global_load_dwordx2 v[20:21], v[2:3], off
	v_mov_b32_e32 v22, s7
	v_add_co_u32_e32 v2, vcc, s8, v2
	v_addc_co_u32_e32 v3, vcc, v3, v22, vcc
	global_load_dwordx2 v[22:23], v[2:3], off
	global_load_dwordx2 v[106:107], v138, s[12:13] offset:4032
	v_mov_b32_e32 v24, s1
	v_add_co_u32_e32 v2, vcc, s6, v2
	v_addc_co_u32_e32 v3, vcc, v3, v24, vcc
	global_load_dwordx2 v[24:25], v[2:3], off
	global_load_dwordx2 v[115:116], v[10:11], off offset:1888
	global_load_dwordx2 v[104:105], v[10:11], off offset:2896
	v_mov_b32_e32 v26, s7
	v_add_co_u32_e32 v2, vcc, s8, v2
	v_addc_co_u32_e32 v3, vcc, v3, v26, vcc
	global_load_dwordx2 v[26:27], v[2:3], off
	global_load_dwordx2 v[102:103], v[0:1], off offset:944
	v_mov_b32_e32 v28, s1
	v_add_co_u32_e32 v2, vcc, s6, v2
	v_addc_co_u32_e32 v3, vcc, v3, v28, vcc
	global_load_dwordx2 v[28:29], v[2:3], off
	;; [unrolled: 5-line block ×3, first 2 shown]
	global_load_dwordx2 v[98:99], v[0:1], off offset:1952
	v_mov_b32_e32 v1, s1
	v_add_co_u32_e32 v0, vcc, s6, v2
	v_addc_co_u32_e32 v1, vcc, v3, v1, vcc
	s_movk_i32 s1, 0x3000
	v_add_co_u32_e32 v2, vcc, s1, v30
	v_addc_co_u32_e32 v3, vcc, 0, v31, vcc
	global_load_dwordx2 v[0:1], v[0:1], off
	v_add_u32_e32 v35, 0xc00, v138
	global_load_dwordx2 v[96:97], v[2:3], off offset:816
	v_add_u32_e32 v37, 0x2c00, v138
	s_load_dwordx4 s[8:11], s[2:3], 0x0
	v_add_u32_e32 v38, 0x1400, v138
	v_add_co_u32_e32 v54, vcc, s0, v137
	s_movk_i32 s0, 0xfc
	s_movk_i32 s1, 0x17a
	v_add_co_u32_e32 v57, vcc, s0, v137
	s_waitcnt vmcnt(25)
	v_mul_f32_e32 v2, v5, v124
	v_mul_f32_e32 v3, v4, v124
	v_fmac_f32_e32 v2, v4, v123
	v_fma_f32 v3, v5, v123, -v3
	s_waitcnt vmcnt(23)
	v_mul_f32_e32 v4, v7, v122
	v_mul_f32_e32 v5, v6, v122
	v_fmac_f32_e32 v4, v6, v121
	v_fma_f32 v5, v7, v121, -v5
	ds_write_b64 v138, v[4:5] offset:7056
	s_waitcnt vmcnt(21)
	v_mul_f32_e32 v4, v13, v118
	v_mul_f32_e32 v5, v12, v118
	v_fmac_f32_e32 v4, v12, v117
	v_fma_f32 v5, v13, v117, -v5
	ds_write2_b64 v138, v[2:3], v[4:5] offset1:126
	s_waitcnt vmcnt(20)
	v_mul_f32_e32 v2, v15, v114
	v_mul_f32_e32 v3, v14, v114
	v_fmac_f32_e32 v2, v14, v113
	v_fma_f32 v3, v15, v113, -v3
	v_add_co_u32_e32 v56, vcc, s1, v137
	s_waitcnt vmcnt(17)
	v_mul_f32_e32 v6, v9, v111
	v_mul_f32_e32 v7, v8, v111
	v_fmac_f32_e32 v6, v8, v110
	v_fma_f32 v7, v9, v110, -v7
	s_waitcnt vmcnt(15)
	v_mul_f32_e32 v4, v17, v120
	v_mul_f32_e32 v5, v16, v120
	ds_write2_b64 v32, v[2:3], v[6:7] offset0:112 offset1:238
	s_waitcnt vmcnt(14)
	v_mul_f32_e32 v2, v19, v109
	v_mul_f32_e32 v3, v18, v109
	v_fmac_f32_e32 v4, v16, v119
	v_fma_f32 v5, v17, v119, -v5
	v_fmac_f32_e32 v2, v18, v108
	v_fma_f32 v3, v19, v108, -v3
	ds_write2_b64 v33, v[4:5], v[2:3] offset0:124 offset1:250
	s_waitcnt vmcnt(11)
	v_mul_f32_e32 v4, v23, v107
	v_mul_f32_e32 v5, v22, v107
	v_fmac_f32_e32 v4, v22, v106
	v_fma_f32 v5, v23, v106, -v5
	s_waitcnt vmcnt(9)
	v_mul_f32_e32 v2, v21, v116
	v_mul_f32_e32 v3, v20, v116
	s_waitcnt vmcnt(8)
	v_mul_f32_e32 v6, v25, v105
	v_mul_f32_e32 v7, v24, v105
	v_fmac_f32_e32 v2, v20, v115
	v_fma_f32 v3, v21, v115, -v3
	v_fmac_f32_e32 v6, v24, v104
	v_fma_f32 v7, v25, v104, -v7
	ds_write2_b64 v34, v[2:3], v[6:7] offset0:108 offset1:234
	s_waitcnt vmcnt(6)
	v_mul_f32_e32 v2, v27, v103
	v_mul_f32_e32 v3, v26, v103
	v_fmac_f32_e32 v2, v26, v102
	v_fma_f32 v3, v27, v102, -v3
	ds_write2_b64 v35, v[4:5], v[2:3] offset0:120 offset1:246
	s_waitcnt vmcnt(4)
	v_mul_f32_e32 v2, v29, v101
	v_mul_f32_e32 v3, v28, v101
	v_fmac_f32_e32 v2, v28, v100
	v_fma_f32 v3, v29, v100, -v3
	s_movk_i32 s1, 0x1f8
	s_waitcnt vmcnt(2)
	v_mul_f32_e32 v4, v11, v99
	v_mul_f32_e32 v5, v10, v99
	v_fmac_f32_e32 v4, v10, v98
	v_fma_f32 v5, v11, v98, -v5
	ds_write_b64 v138, v[4:5] offset:6048
	v_add_co_u32_e32 v55, vcc, s1, v137
	v_lshlrev_b32_e32 v36, 1, v137
	v_lshlrev_b32_e32 v74, 4, v137
	;; [unrolled: 1-line block ×6, first 2 shown]
	s_waitcnt vmcnt(0)
	v_mul_f32_e32 v4, v1, v97
	v_fmac_f32_e32 v4, v0, v96
	v_mul_f32_e32 v0, v0, v97
	v_fma_f32 v5, v1, v96, -v0
	ds_write2_b64 v37, v[2:3], v[4:5] offset0:104 offset1:230
	s_waitcnt lgkmcnt(0)
	s_barrier
	ds_read2_b64 v[0:3], v138 offset1:126
	ds_read2_b64 v[4:7], v38 offset0:116 offset1:242
	ds_read2_b64 v[8:11], v32 offset0:112 offset1:238
	;; [unrolled: 1-line block ×6, first 2 shown]
	s_waitcnt lgkmcnt(0)
	s_barrier
	v_sub_f32_e32 v8, v2, v8
	v_sub_f32_e32 v9, v3, v9
	;; [unrolled: 1-line block ×4, first 2 shown]
	v_fma_f32 v6, v2, 2.0, -v8
	v_fma_f32 v7, v3, 2.0, -v9
	v_sub_f32_e32 v2, v12, v10
	v_sub_f32_e32 v3, v13, v11
	v_fma_f32 v28, v0, 2.0, -v30
	v_fma_f32 v29, v1, 2.0, -v31
	;; [unrolled: 1-line block ×4, first 2 shown]
	v_sub_f32_e32 v12, v14, v16
	v_sub_f32_e32 v13, v15, v17
	;; [unrolled: 1-line block ×4, first 2 shown]
	v_fma_f32 v10, v14, 2.0, -v12
	v_fma_f32 v11, v15, 2.0, -v13
	v_fma_f32 v14, v20, 2.0, -v16
	v_fma_f32 v15, v21, 2.0, -v17
	v_sub_f32_e32 v20, v22, v24
	v_sub_f32_e32 v21, v23, v25
	v_fma_f32 v18, v22, 2.0, -v20
	v_fma_f32 v19, v23, 2.0, -v21
	v_sub_f32_e32 v24, v4, v26
	v_sub_f32_e32 v25, v5, v27
	ds_write_b128 v74, v[28:31]
	ds_write_b128 v75, v[6:9]
	;; [unrolled: 1-line block ×3, first 2 shown]
	v_lshlrev_b32_e32 v0, 3, v36
	v_and_b32_e32 v30, 1, v137
	v_fma_f32 v22, v4, 2.0, -v24
	v_fma_f32 v23, v5, 2.0, -v25
	ds_write_b128 v77, v[10:13]
	ds_write_b128 v78, v[14:17]
	ds_write_b128 v0, v[18:21] offset:10080
	ds_write_b128 v0, v[22:25] offset:12096
	v_lshlrev_b32_e32 v0, 3, v30
	s_waitcnt lgkmcnt(0)
	s_barrier
	global_load_dwordx2 v[72:73], v0, s[14:15]
	ds_read2_b64 v[0:3], v138 offset1:126
	ds_read2_b64 v[4:7], v38 offset0:116 offset1:242
	ds_read2_b64 v[8:11], v32 offset0:112 offset1:238
	;; [unrolled: 1-line block ×6, first 2 shown]
	v_lshlrev_b32_e32 v31, 1, v54
	v_lshlrev_b32_e32 v39, 1, v57
	s_waitcnt vmcnt(0) lgkmcnt(0)
	s_barrier
	v_lshlrev_b32_e32 v40, 1, v56
	v_lshlrev_b32_e32 v41, 1, v55
	v_add_u32_e32 v58, 0x4ec, v36
	s_movk_i32 s1, 0x5fc
	v_add_u32_e32 v59, 0x5e8, v36
	s_load_dwordx2 s[2:3], s[4:5], 0x38
	v_mul_f32_e32 v28, v7, v73
	v_fma_f32 v28, v6, v72, -v28
	v_mul_f32_e32 v29, v6, v73
	v_mul_f32_e32 v6, v9, v73
	v_fma_f32 v32, v8, v72, -v6
	v_mul_f32_e32 v6, v11, v73
	v_fma_f32 v38, v10, v72, -v6
	;; [unrolled: 2-line block ×5, first 2 shown]
	v_mul_f32_e32 v6, v27, v73
	v_mul_f32_e32 v48, v24, v73
	v_fma_f32 v49, v26, v72, -v6
	v_fmac_f32_e32 v29, v7, v72
	v_fmac_f32_e32 v48, v25, v72
	v_sub_f32_e32 v6, v0, v28
	v_sub_f32_e32 v28, v4, v49
	;; [unrolled: 1-line block ×4, first 2 shown]
	v_fma_f32 v48, v4, 2.0, -v28
	v_and_or_b32 v4, v36, s0, v30
	v_fma_f32 v0, v0, 2.0, -v6
	v_fma_f32 v1, v1, 2.0, -v7
	v_lshlrev_b32_e32 v79, 3, v4
	s_movk_i32 s0, 0x1fc
	ds_write2_b64 v79, v[0:1], v[6:7] offset1:2
	v_and_or_b32 v0, v31, s0, v30
	s_movk_i32 s0, 0x3fc
	v_lshlrev_b32_e32 v80, 3, v0
	v_and_or_b32 v0, v39, s0, v30
	v_lshlrev_b32_e32 v81, 3, v0
	v_and_or_b32 v0, v40, s0, v30
	s_movk_i32 s0, 0x7fc
	v_mul_f32_e32 v35, v8, v73
	v_mul_f32_e32 v42, v10, v73
	;; [unrolled: 1-line block ×5, first 2 shown]
	v_lshlrev_b32_e32 v82, 3, v0
	v_and_or_b32 v0, v41, s0, v30
	v_fmac_f32_e32 v35, v9, v72
	v_fmac_f32_e32 v42, v11, v72
	;; [unrolled: 1-line block ×5, first 2 shown]
	v_lshlrev_b32_e32 v83, 3, v0
	v_and_or_b32 v0, v58, s1, v30
	v_sub_f32_e32 v8, v2, v32
	v_sub_f32_e32 v9, v3, v35
	;; [unrolled: 1-line block ×10, first 2 shown]
	v_lshlrev_b32_e32 v84, 3, v0
	v_and_or_b32 v0, v59, s0, v30
	v_fma_f32 v2, v2, 2.0, -v8
	v_fma_f32 v3, v3, 2.0, -v9
	;; [unrolled: 1-line block ×11, first 2 shown]
	v_lshlrev_b32_e32 v85, 3, v0
	v_add_u32_e32 v0, 0x1000, v138
	ds_write2_b64 v80, v[2:3], v[8:9] offset1:2
	ds_write2_b64 v81, v[12:13], v[10:11] offset1:2
	;; [unrolled: 1-line block ×6, first 2 shown]
	s_waitcnt lgkmcnt(0)
	s_barrier
	ds_read2_b64 v[8:11], v138 offset1:126
	ds_read2_b64 v[12:15], v0 offset0:76 offset1:202
	ds_read2_b64 v[16:19], v34 offset0:24 offset1:150
	;; [unrolled: 1-line block ×3, first 2 shown]
	v_add_u32_e32 v0, 0x1800, v138
	ds_read2_b64 v[20:23], v0 offset0:72 offset1:198
	ds_read2_b64 v[24:27], v37 offset0:20 offset1:146
	s_movk_i32 s0, 0x54
	v_cmp_gt_u16_e32 vcc, s0, v137
                                        ; implicit-def: $vgpr30
	s_and_saveexec_b64 s[0:1], vcc
	s_cbranch_execz .LBB0_3
; %bb.2:
	ds_read_b64 v[48:49], v138 offset:4032
	ds_read_b64 v[28:29], v138 offset:8736
	ds_read_b64 v[30:31], v138 offset:13440
.LBB0_3:
	s_or_b64 exec, exec, s[0:1]
	v_and_b32_e32 v139, 3, v137
	v_lshlrev_b32_e32 v0, 4, v139
	v_and_b32_e32 v32, 3, v56
	global_load_dwordx4 v[0:3], v0, s[14:15] offset:16
	v_lshlrev_b32_e32 v33, 4, v32
	global_load_dwordx2 v[125:126], v33, s[14:15] offset:16
	global_load_dwordx2 v[127:128], v33, s[14:15] offset:24
	;; [unrolled: 1-line block ×3, first 2 shown]
	global_load_dword v140, v33, s[14:15] offset:28
	v_and_b32_e32 v33, 3, v54
	v_lshlrev_b32_e32 v34, 4, v33
	global_load_dword v141, v34, s[14:15] offset:16
	s_waitcnt vmcnt(0) lgkmcnt(0)
	s_barrier
	v_lshrrev_b32_e32 v146, 2, v55
	v_mul_f32_e32 v38, v15, v126
	v_mul_f32_e32 v34, v13, v1
	;; [unrolled: 1-line block ×8, first 2 shown]
	v_fma_f32 v12, v12, v0, -v34
	v_fmac_f32_e32 v35, v13, v0
	v_fma_f32 v13, v16, v2, -v36
	v_fmac_f32_e32 v37, v17, v2
	v_mul_f32_e32 v39, v14, v126
	v_mul_f32_e32 v40, v19, v128
	;; [unrolled: 1-line block ×4, first 2 shown]
	v_fmac_f32_e32 v41, v19, v130
	v_fma_f32 v34, v20, v0, -v42
	v_fma_f32 v24, v24, v2, -v44
	v_add_f32_e32 v17, v12, v13
	v_add_f32_e32 v19, v35, v37
	v_mul_f32_e32 v43, v20, v1
	v_mul_f32_e32 v47, v22, v129
	v_mul_f32_e32 v61, v30, v3
	v_fma_f32 v14, v14, v141, -v38
	v_fmac_f32_e32 v39, v15, v141
	v_fma_f32 v15, v18, v130, -v40
	v_fma_f32 v36, v22, v125, -v46
	v_add_f32_e32 v16, v8, v12
	v_sub_f32_e32 v22, v35, v37
	v_add_f32_e32 v18, v9, v35
	v_add_f32_e32 v35, v34, v24
	v_fma_f32 v8, -0.5, v17, v8
	v_fma_f32 v9, -0.5, v19, v9
	v_mul_f32_e32 v60, v31, v3
	v_fmac_f32_e32 v43, v21, v0
	v_fmac_f32_e32 v45, v25, v2
	;; [unrolled: 1-line block ×4, first 2 shown]
	v_sub_f32_e32 v23, v12, v13
	v_add_f32_e32 v21, v14, v15
	v_add_f32_e32 v31, v4, v34
	;; [unrolled: 1-line block ×4, first 2 shown]
	v_fma_f32 v4, -0.5, v35, v4
	v_mov_b32_e32 v18, v8
	v_mov_b32_e32 v19, v9
	v_mul_f32_e32 v50, v27, v140
	v_mul_f32_e32 v53, v28, v1
	v_add_f32_e32 v20, v10, v14
	v_fma_f32 v10, -0.5, v21, v10
	v_fmac_f32_e32 v8, 0xbf5db3d7, v22
	v_fmac_f32_e32 v9, 0x3f5db3d7, v23
	;; [unrolled: 1-line block ×4, first 2 shown]
	v_sub_f32_e32 v17, v43, v45
	v_mov_b32_e32 v22, v4
	v_add_f32_e32 v23, v43, v45
	v_mul_f32_e32 v52, v29, v1
	v_fma_f32 v38, v26, v127, -v50
	v_fmac_f32_e32 v53, v29, v0
	v_fma_f32 v29, v30, v2, -v60
	v_sub_f32_e32 v25, v39, v41
	v_sub_f32_e32 v30, v14, v15
	v_add_f32_e32 v14, v20, v15
	v_mov_b32_e32 v20, v10
	v_fmac_f32_e32 v22, 0x3f5db3d7, v17
	v_fmac_f32_e32 v4, 0xbf5db3d7, v17
	v_add_f32_e32 v17, v5, v43
	v_fma_f32 v5, -0.5, v23, v5
	v_mul_f32_e32 v51, v26, v140
	v_add_f32_e32 v16, v31, v24
	v_fmac_f32_e32 v10, 0xbf5db3d7, v25
	v_fmac_f32_e32 v20, 0x3f5db3d7, v25
	v_sub_f32_e32 v24, v34, v24
	v_mov_b32_e32 v23, v5
	v_add_f32_e32 v25, v36, v38
	v_fmac_f32_e32 v51, v27, v127
	v_add_f32_e32 v26, v11, v39
	v_add_f32_e32 v27, v39, v41
	v_fmac_f32_e32 v23, 0xbf5db3d7, v24
	v_fmac_f32_e32 v5, 0x3f5db3d7, v24
	v_add_f32_e32 v24, v6, v36
	v_fma_f32 v6, -0.5, v25, v6
	v_add_f32_e32 v15, v26, v41
	v_fmac_f32_e32 v11, -0.5, v27
	v_sub_f32_e32 v25, v47, v51
	v_mov_b32_e32 v26, v6
	v_add_f32_e32 v27, v47, v51
	v_mov_b32_e32 v21, v11
	v_fmac_f32_e32 v26, 0x3f5db3d7, v25
	v_fmac_f32_e32 v6, 0xbf5db3d7, v25
	v_add_f32_e32 v25, v7, v47
	v_fmac_f32_e32 v7, -0.5, v27
	v_fma_f32 v28, v28, v0, -v52
	v_fmac_f32_e32 v11, 0x3f5db3d7, v30
	v_fmac_f32_e32 v21, 0xbf5db3d7, v30
	v_sub_f32_e32 v30, v36, v38
	v_mov_b32_e32 v27, v7
	v_fmac_f32_e32 v27, 0xbf5db3d7, v30
	v_fmac_f32_e32 v7, 0x3f5db3d7, v30
	v_add_f32_e32 v30, v48, v28
	v_add_f32_e32 v50, v30, v29
	;; [unrolled: 1-line block ×3, first 2 shown]
	v_fmac_f32_e32 v48, -0.5, v30
	v_sub_f32_e32 v30, v53, v61
	v_mov_b32_e32 v52, v48
	v_fmac_f32_e32 v52, 0x3f5db3d7, v30
	v_fmac_f32_e32 v48, 0xbf5db3d7, v30
	v_add_f32_e32 v30, v49, v53
	v_add_f32_e32 v25, v25, v51
	;; [unrolled: 1-line block ×4, first 2 shown]
	v_fmac_f32_e32 v49, -0.5, v30
	v_sub_f32_e32 v28, v28, v29
	v_mov_b32_e32 v53, v49
	v_fmac_f32_e32 v53, 0xbf5db3d7, v28
	v_fmac_f32_e32 v49, 0x3f5db3d7, v28
	v_lshrrev_b32_e32 v28, 2, v137
	v_mul_u32_u24_e32 v28, 12, v28
	v_or_b32_e32 v28, v28, v139
	v_lshlrev_b32_e32 v142, 3, v28
	ds_write2_b64 v142, v[12:13], v[18:19] offset1:4
	ds_write_b64 v142, v[8:9] offset:64
	v_lshrrev_b32_e32 v8, 2, v54
	v_mul_u32_u24_e32 v8, 12, v8
	v_or_b32_e32 v8, v8, v33
	v_lshlrev_b32_e32 v143, 3, v8
	v_lshrrev_b32_e32 v8, 2, v57
	v_mul_u32_u24_e32 v8, 12, v8
	v_or_b32_e32 v8, v8, v139
	v_add_f32_e32 v17, v17, v45
	v_lshlrev_b32_e32 v144, 3, v8
	ds_write2_b64 v143, v[14:15], v[20:21] offset1:4
	ds_write_b64 v143, v[10:11] offset:64
	ds_write2_b64 v144, v[16:17], v[22:23] offset1:4
	ds_write_b64 v144, v[4:5] offset:64
	v_lshrrev_b32_e32 v4, 2, v56
	v_mul_u32_u24_e32 v4, 12, v4
	v_or_b32_e32 v4, v4, v32
	v_add_f32_e32 v24, v24, v38
	v_lshlrev_b32_e32 v145, 3, v4
	ds_write2_b64 v145, v[24:25], v[26:27] offset1:4
	ds_write_b64 v145, v[6:7] offset:64
	s_and_saveexec_b64 s[0:1], vcc
	s_cbranch_execz .LBB0_5
; %bb.4:
	v_mul_u32_u24_e32 v4, 12, v146
	v_or_b32_e32 v4, v4, v139
	v_lshlrev_b32_e32 v4, 3, v4
	ds_write2_b64 v4, v[50:51], v[52:53] offset1:4
	ds_write_b64 v4, v[48:49] offset:64
.LBB0_5:
	s_or_b64 exec, exec, s[0:1]
	v_add_u32_e32 v4, 0x1000, v138
	s_waitcnt lgkmcnt(0)
	s_barrier
	ds_read2_b64 v[32:35], v4 offset0:76 offset1:202
	v_add_u32_e32 v4, 0x2400, v138
	ds_read2_b64 v[36:39], v4 offset0:24 offset1:150
	v_add_u32_e32 v4, 0x400, v138
	;; [unrolled: 2-line block ×4, first 2 shown]
	ds_read2_b64 v[28:31], v138 offset1:126
	ds_read2_b64 v[44:47], v4 offset0:20 offset1:146
	s_and_saveexec_b64 s[0:1], vcc
	s_cbranch_execz .LBB0_7
; %bb.6:
	ds_read_b64 v[50:51], v138 offset:4032
	ds_read_b64 v[52:53], v138 offset:8736
	;; [unrolled: 1-line block ×3, first 2 shown]
.LBB0_7:
	s_or_b64 exec, exec, s[0:1]
	s_movk_i32 s0, 0xab
	v_mul_lo_u16_sdwa v4, v137, s0 dst_sel:DWORD dst_unused:UNUSED_PAD src0_sel:BYTE_0 src1_sel:DWORD
	v_lshrrev_b16_e32 v60, 11, v4
	v_mul_lo_u16_sdwa v5, v54, s0 dst_sel:DWORD dst_unused:UNUSED_PAD src0_sel:BYTE_0 src1_sel:DWORD
	v_mul_lo_u16_e32 v4, 12, v60
	v_lshrrev_b16_e32 v62, 11, v5
	v_sub_u16_e32 v4, v137, v4
	v_mul_lo_u16_e32 v5, 12, v62
	v_and_b32_e32 v61, 0xff, v4
	v_sub_u16_e32 v5, v54, v5
	v_lshlrev_b32_e32 v4, 4, v61
	v_and_b32_e32 v63, 0xff, v5
	v_lshlrev_b32_e32 v5, 4, v63
	global_load_dwordx4 v[12:15], v4, s[14:15] offset:80
	global_load_dwordx4 v[8:11], v5, s[14:15] offset:80
	s_mov_b32 s4, 0xaaab
	v_mul_u32_u24_sdwa v4, v57, s4 dst_sel:DWORD dst_unused:UNUSED_PAD src0_sel:WORD_0 src1_sel:DWORD
	v_lshrrev_b32_e32 v64, 19, v4
	v_mul_lo_u16_e32 v4, 12, v64
	v_mul_u32_u24_sdwa v6, v56, s4 dst_sel:DWORD dst_unused:UNUSED_PAD src0_sel:WORD_0 src1_sel:DWORD
	v_sub_u16_e32 v65, v57, v4
	v_lshrrev_b32_e32 v66, 19, v6
	v_lshlrev_b16_e32 v4, 4, v65
	v_mul_lo_u16_e32 v6, 12, v66
	v_mov_b32_e32 v57, s15
	v_add_co_u32_e64 v4, s[0:1], s14, v4
	v_sub_u16_e32 v67, v56, v6
	v_addc_co_u32_e64 v5, s[0:1], 0, v57, s[0:1]
	v_lshlrev_b16_e32 v6, 4, v67
	v_add_co_u32_e64 v6, s[0:1], s14, v6
	v_addc_co_u32_e64 v7, s[0:1], 0, v57, s[0:1]
	global_load_dwordx4 v[20:23], v[4:5], off offset:80
	global_load_dwordx4 v[16:19], v[6:7], off offset:80
	v_mul_u32_u24_sdwa v4, v55, s4 dst_sel:DWORD dst_unused:UNUSED_PAD src0_sel:WORD_0 src1_sel:DWORD
	v_lshrrev_b32_e32 v68, 19, v4
	v_mul_lo_u16_e32 v4, 12, v68
	v_sub_u16_e32 v69, v55, v4
	v_lshlrev_b16_e32 v4, 4, v69
	v_add_co_u32_e64 v4, s[0:1], s14, v4
	v_addc_co_u32_e64 v5, s[0:1], 0, v57, s[0:1]
	global_load_dwordx4 v[4:7], v[4:5], off offset:80
	v_lshlrev_b32_e32 v86, 3, v59
	v_lshlrev_b32_e32 v87, 3, v58
	s_waitcnt vmcnt(0) lgkmcnt(0)
	s_barrier
	v_mad_legacy_u16 v147, v68, 36, v69
	v_mul_f32_e32 v57, v33, v13
	v_mul_f32_e32 v59, v37, v15
	;; [unrolled: 1-line block ×3, first 2 shown]
	v_fma_f32 v57, v32, v12, -v57
	v_fma_f32 v59, v36, v14, -v59
	v_mul_f32_e32 v58, v32, v13
	v_mul_f32_e32 v70, v36, v15
	v_mul_f32_e32 v71, v35, v9
	v_fmac_f32_e32 v88, v35, v8
	v_add_f32_e32 v35, v57, v59
	v_mul_f32_e32 v89, v39, v11
	v_fmac_f32_e32 v58, v33, v12
	v_fmac_f32_e32 v70, v37, v14
	v_fma_f32 v36, -0.5, v35, v28
	v_mul_f32_e32 v90, v38, v11
	v_fma_f32 v71, v34, v8, -v71
	v_fma_f32 v89, v38, v10, -v89
	v_add_f32_e32 v34, v28, v57
	v_sub_f32_e32 v28, v58, v70
	v_mov_b32_e32 v38, v36
	v_fmac_f32_e32 v38, 0x3f5db3d7, v28
	v_fmac_f32_e32 v36, 0xbf5db3d7, v28
	v_add_f32_e32 v28, v29, v58
	v_add_f32_e32 v35, v28, v70
	;; [unrolled: 1-line block ×3, first 2 shown]
	v_fma_f32 v37, -0.5, v28, v29
	v_fmac_f32_e32 v90, v39, v10
	v_sub_f32_e32 v28, v57, v59
	v_mov_b32_e32 v39, v37
	v_mul_f32_e32 v91, v41, v21
	v_fmac_f32_e32 v39, 0xbf5db3d7, v28
	v_fmac_f32_e32 v37, 0x3f5db3d7, v28
	v_add_f32_e32 v28, v30, v71
	v_mul_f32_e32 v92, v40, v21
	v_fma_f32 v91, v40, v20, -v91
	v_add_f32_e32 v40, v28, v89
	v_add_f32_e32 v28, v71, v89
	v_mul_f32_e32 v95, v43, v17
	v_fma_f32 v30, -0.5, v28, v30
	v_mul_f32_e32 v131, v42, v17
	v_fma_f32 v95, v42, v16, -v95
	v_sub_f32_e32 v28, v88, v90
	v_mov_b32_e32 v42, v30
	v_fmac_f32_e32 v42, 0x3f5db3d7, v28
	v_fmac_f32_e32 v30, 0xbf5db3d7, v28
	v_add_f32_e32 v28, v31, v88
	v_fmac_f32_e32 v92, v41, v20
	v_add_f32_e32 v41, v28, v90
	v_add_f32_e32 v28, v88, v90
	v_fmac_f32_e32 v31, -0.5, v28
	v_mul_f32_e32 v93, v45, v23
	v_fmac_f32_e32 v131, v43, v16
	v_sub_f32_e32 v28, v71, v89
	v_mov_b32_e32 v43, v31
	v_fma_f32 v93, v44, v22, -v93
	v_fmac_f32_e32 v43, 0xbf5db3d7, v28
	v_fmac_f32_e32 v31, 0x3f5db3d7, v28
	v_add_f32_e32 v28, v24, v91
	v_mul_f32_e32 v94, v44, v23
	v_mul_f32_e32 v132, v47, v19
	v_add_f32_e32 v44, v28, v93
	v_add_f32_e32 v28, v91, v93
	v_mul_f32_e32 v133, v46, v19
	v_mul_f32_e32 v135, v49, v7
	v_fmac_f32_e32 v94, v45, v22
	v_fma_f32 v132, v46, v18, -v132
	v_fma_f32 v46, -0.5, v28, v24
	v_mul_f32_e32 v56, v48, v7
	v_fma_f32 v33, v48, v6, -v135
	v_sub_f32_e32 v24, v92, v94
	v_mov_b32_e32 v48, v46
	v_fmac_f32_e32 v48, 0x3f5db3d7, v24
	v_fmac_f32_e32 v46, 0xbf5db3d7, v24
	v_add_f32_e32 v24, v25, v92
	v_add_f32_e32 v45, v24, v94
	;; [unrolled: 1-line block ×3, first 2 shown]
	v_fmac_f32_e32 v133, v47, v18
	v_fma_f32 v47, -0.5, v24, v25
	v_fmac_f32_e32 v56, v49, v6
	v_sub_f32_e32 v24, v91, v93
	v_mov_b32_e32 v49, v47
	v_mul_f32_e32 v134, v53, v5
	v_fmac_f32_e32 v49, 0xbf5db3d7, v24
	v_fmac_f32_e32 v47, 0x3f5db3d7, v24
	v_add_f32_e32 v24, v26, v95
	v_mul_f32_e32 v55, v52, v5
	v_fma_f32 v32, v52, v4, -v134
	v_add_f32_e32 v52, v24, v132
	v_add_f32_e32 v24, v95, v132
	v_fma_f32 v26, -0.5, v24, v26
	v_sub_f32_e32 v24, v131, v133
	v_mov_b32_e32 v57, v26
	v_fmac_f32_e32 v57, 0x3f5db3d7, v24
	v_fmac_f32_e32 v26, 0xbf5db3d7, v24
	v_add_f32_e32 v24, v27, v131
	v_fmac_f32_e32 v55, v53, v4
	v_add_f32_e32 v34, v34, v59
	v_add_f32_e32 v53, v24, v133
	;; [unrolled: 1-line block ×3, first 2 shown]
	v_mul_u32_u24_e32 v59, 36, v60
	v_fmac_f32_e32 v27, -0.5, v24
	v_add_lshl_u32 v148, v59, v61, 3
	v_sub_f32_e32 v24, v95, v132
	v_mov_b32_e32 v58, v27
	ds_write2_b64 v148, v[34:35], v[38:39] offset1:12
	ds_write_b64 v148, v[36:37] offset:192
	v_mul_u32_u24_e32 v34, 36, v62
	v_fmac_f32_e32 v58, 0xbf5db3d7, v24
	v_fmac_f32_e32 v27, 0x3f5db3d7, v24
	v_add_f32_e32 v24, v32, v33
	v_add_f32_e32 v25, v55, v56
	v_add_lshl_u32 v149, v34, v63, 3
	v_fma_f32 v24, -0.5, v24, v50
	v_fma_f32 v25, -0.5, v25, v51
	ds_write2_b64 v149, v[40:41], v[42:43] offset1:12
	ds_write_b64 v149, v[30:31] offset:192
	v_mad_legacy_u16 v30, v64, 36, v65
	v_sub_f32_e32 v28, v55, v56
	v_mov_b32_e32 v131, v24
	v_sub_f32_e32 v29, v32, v33
	v_mov_b32_e32 v132, v25
	v_lshlrev_b32_e32 v150, 3, v30
	v_mad_legacy_u16 v30, v66, 36, v67
	v_fmac_f32_e32 v131, 0xbf5db3d7, v28
	v_fmac_f32_e32 v132, 0x3f5db3d7, v29
	v_lshlrev_b32_e32 v151, 3, v30
	ds_write2_b64 v150, v[44:45], v[48:49] offset1:12
	ds_write_b64 v150, v[46:47] offset:192
	ds_write2_b64 v151, v[52:53], v[57:58] offset1:12
	ds_write_b64 v151, v[26:27] offset:192
	s_and_saveexec_b64 s[0:1], vcc
	s_cbranch_execz .LBB0_9
; %bb.8:
	v_add_f32_e32 v26, v51, v55
	v_mul_f32_e32 v28, 0x3f5db3d7, v28
	v_mul_f32_e32 v29, 0x3f5db3d7, v29
	v_add_f32_e32 v27, v26, v56
	v_add_f32_e32 v26, v50, v32
	;; [unrolled: 1-line block ×3, first 2 shown]
	v_sub_f32_e32 v25, v25, v29
	v_add_f32_e32 v24, v28, v24
	v_lshlrev_b32_e32 v28, 3, v147
	ds_write2_b64 v28, v[26:27], v[24:25] offset1:12
	ds_write_b64 v28, v[131:132] offset:192
.LBB0_9:
	s_or_b64 exec, exec, s[0:1]
	v_mov_b32_e32 v28, 57
	v_mul_lo_u16_sdwa v24, v137, v28 dst_sel:DWORD dst_unused:UNUSED_PAD src0_sel:BYTE_0 src1_sel:DWORD
	v_lshrrev_b16_e32 v133, 11, v24
	v_mul_lo_u16_e32 v24, 36, v133
	v_sub_u16_e32 v24, v137, v24
	v_mul_lo_u16_sdwa v28, v54, v28 dst_sel:DWORD dst_unused:UNUSED_PAD src0_sel:BYTE_0 src1_sel:DWORD
	v_and_b32_e32 v134, 0xff, v24
	v_lshrrev_b16_e32 v135, 11, v28
	v_mad_u64_u32 v[48:49], s[0:1], v134, 48, s[14:15]
	v_mul_lo_u16_e32 v28, 36, v135
	v_sub_u16_e32 v28, v54, v28
	v_and_b32_e32 v136, 0xff, v28
	v_mad_u64_u32 v[50:51], s[0:1], v136, 48, s[14:15]
	s_waitcnt lgkmcnt(0)
	s_barrier
	global_load_dwordx4 v[24:27], v[48:49], off offset:288
	global_load_dwordx4 v[32:35], v[48:49], off offset:272
	;; [unrolled: 1-line block ×6, first 2 shown]
	v_add_u32_e32 v155, 0x400, v138
	ds_read2_b64 v[48:51], v138 offset1:126
	v_add_u32_e32 v89, 0xc00, v138
	v_add_u32_e32 v91, 0x1400, v138
	;; [unrolled: 1-line block ×5, first 2 shown]
	ds_read2_b64 v[52:55], v155 offset0:124 offset1:250
	ds_read2_b64 v[56:59], v89 offset0:120 offset1:246
	;; [unrolled: 1-line block ×6, first 2 shown]
	s_mov_b32 s4, 0x3f5ff5aa
	s_mov_b32 s6, 0x3f3bfb3b
	;; [unrolled: 1-line block ×4, first 2 shown]
	v_mul_u32_u24_e32 v133, 0xfc, v133
	s_waitcnt vmcnt(0) lgkmcnt(0)
	s_barrier
	v_mul_f32_e32 v162, v69, v45
	v_mul_f32_e32 v158, v61, v25
	;; [unrolled: 1-line block ×13, first 2 shown]
	v_fma_f32 v52, v52, v32, -v152
	v_fmac_f32_e32 v153, v53, v32
	v_fma_f32 v53, v56, v34, -v156
	v_fma_f32 v56, v60, v24, -v158
	v_fmac_f32_e32 v159, v61, v24
	v_fma_f32 v60, v68, v44, -v162
	v_fma_f32 v61, v92, v46, -v164
	v_mul_f32_e32 v161, v64, v27
	v_mul_f32_e32 v167, v54, v41
	;; [unrolled: 1-line block ×6, first 2 shown]
	v_fmac_f32_e32 v157, v57, v34
	v_fma_f32 v57, v64, v26, -v160
	v_fmac_f32_e32 v163, v69, v44
	v_fmac_f32_e32 v165, v93, v46
	v_fma_f32 v64, v54, v40, -v166
	v_fmac_f32_e32 v169, v59, v42
	v_add_f32_e32 v54, v52, v61
	v_add_f32_e32 v59, v53, v60
	v_mul_f32_e32 v171, v62, v37
	v_mul_f32_e32 v172, v67, v39
	;; [unrolled: 1-line block ×3, first 2 shown]
	v_fmac_f32_e32 v161, v65, v26
	v_fmac_f32_e32 v167, v55, v40
	v_fma_f32 v68, v62, v36, -v170
	v_fmac_f32_e32 v173, v67, v38
	v_fma_f32 v67, v70, v28, -v174
	v_add_f32_e32 v55, v153, v165
	v_sub_f32_e32 v52, v52, v61
	v_add_f32_e32 v61, v157, v163
	v_add_f32_e32 v62, v56, v57
	;; [unrolled: 1-line block ×3, first 2 shown]
	v_fmac_f32_e32 v171, v63, v36
	v_fmac_f32_e32 v175, v71, v28
	v_add_f32_e32 v63, v159, v161
	v_add_f32_e32 v71, v61, v55
	v_sub_f32_e32 v92, v59, v54
	v_sub_f32_e32 v54, v54, v62
	;; [unrolled: 1-line block ×3, first 2 shown]
	v_add_f32_e32 v62, v62, v70
	v_mul_f32_e32 v176, v95, v31
	v_sub_f32_e32 v53, v53, v60
	v_sub_f32_e32 v56, v57, v56
	;; [unrolled: 1-line block ×5, first 2 shown]
	v_add_f32_e32 v63, v63, v71
	v_add_f32_e32 v48, v48, v62
	v_mul_f32_e32 v177, v94, v31
	v_fma_f32 v65, v58, v42, -v168
	v_fma_f32 v69, v94, v30, -v176
	v_sub_f32_e32 v58, v153, v165
	v_sub_f32_e32 v60, v157, v163
	;; [unrolled: 1-line block ×3, first 2 shown]
	v_add_f32_e32 v94, v56, v53
	v_sub_f32_e32 v152, v56, v53
	v_sub_f32_e32 v53, v53, v52
	v_add_f32_e32 v49, v49, v63
	v_mov_b32_e32 v156, v48
	v_fmac_f32_e32 v177, v95, v30
	v_add_f32_e32 v95, v57, v60
	v_sub_f32_e32 v153, v57, v60
	v_sub_f32_e32 v56, v52, v56
	;; [unrolled: 1-line block ×3, first 2 shown]
	v_add_f32_e32 v52, v94, v52
	v_mul_f32_e32 v54, 0x3f4a47b2, v54
	v_mul_f32_e32 v55, 0x3f4a47b2, v55
	;; [unrolled: 1-line block ×6, first 2 shown]
	v_fmac_f32_e32 v156, 0xbf955555, v62
	v_mov_b32_e32 v62, v49
	v_sub_f32_e32 v57, v58, v57
	v_add_f32_e32 v58, v95, v58
	v_mul_f32_e32 v95, 0xbf08b237, v153
	v_mul_f32_e32 v153, 0x3f5ff5aa, v60
	v_fmac_f32_e32 v62, 0xbf955555, v63
	v_fma_f32 v63, v92, s6, -v70
	v_fma_f32 v70, v93, s6, -v71
	v_fma_f32 v71, v92, s5, -v54
	v_fmac_f32_e32 v54, 0x3d64c772, v59
	v_fma_f32 v59, v93, s5, -v55
	v_fmac_f32_e32 v55, 0x3d64c772, v61
	v_fma_f32 v61, v53, s4, -v94
	v_fma_f32 v92, v56, s7, -v152
	v_fmac_f32_e32 v94, 0x3eae86e6, v56
	v_fma_f32 v60, v60, s4, -v95
	v_fmac_f32_e32 v95, 0x3eae86e6, v57
	v_fma_f32 v93, v57, s7, -v153
	v_add_f32_e32 v153, v55, v62
	v_add_f32_e32 v70, v70, v62
	;; [unrolled: 1-line block ×3, first 2 shown]
	v_fmac_f32_e32 v61, 0x3ee1c552, v52
	v_fmac_f32_e32 v92, 0x3ee1c552, v52
	v_fma_f32 v66, v66, v38, -v172
	v_add_f32_e32 v152, v54, v156
	v_add_f32_e32 v63, v63, v156
	;; [unrolled: 1-line block ×3, first 2 shown]
	v_fmac_f32_e32 v94, 0x3ee1c552, v52
	v_fmac_f32_e32 v95, 0x3ee1c552, v58
	;; [unrolled: 1-line block ×4, first 2 shown]
	v_sub_f32_e32 v55, v62, v92
	v_add_f32_e32 v57, v61, v70
	v_sub_f32_e32 v59, v70, v61
	v_add_f32_e32 v61, v92, v62
	v_add_f32_e32 v70, v64, v69
	;; [unrolled: 1-line block ×4, first 2 shown]
	v_sub_f32_e32 v53, v153, v94
	v_add_f32_e32 v54, v93, v71
	v_sub_f32_e32 v56, v63, v60
	v_add_f32_e32 v58, v60, v63
	v_sub_f32_e32 v60, v71, v93
	v_sub_f32_e32 v62, v152, v95
	v_add_f32_e32 v63, v94, v153
	v_add_f32_e32 v71, v167, v177
	;; [unrolled: 1-line block ×7, first 2 shown]
	v_sub_f32_e32 v156, v92, v70
	v_sub_f32_e32 v70, v70, v94
	;; [unrolled: 1-line block ×3, first 2 shown]
	v_add_f32_e32 v94, v94, v152
	v_sub_f32_e32 v157, v93, v71
	v_sub_f32_e32 v71, v71, v95
	;; [unrolled: 1-line block ×3, first 2 shown]
	v_add_f32_e32 v95, v95, v153
	v_add_f32_e32 v50, v50, v94
	;; [unrolled: 1-line block ×3, first 2 shown]
	v_mov_b32_e32 v162, v50
	v_mul_f32_e32 v70, 0x3f4a47b2, v70
	v_mul_f32_e32 v71, 0x3f4a47b2, v71
	;; [unrolled: 1-line block ×4, first 2 shown]
	v_fmac_f32_e32 v162, 0xbf955555, v94
	v_mov_b32_e32 v94, v51
	v_sub_f32_e32 v65, v65, v67
	v_sub_f32_e32 v67, v169, v175
	;; [unrolled: 1-line block ×4, first 2 shown]
	v_fmac_f32_e32 v94, 0xbf955555, v95
	v_fma_f32 v95, v156, s6, -v152
	v_fma_f32 v152, v157, s6, -v153
	v_fma_f32 v153, v156, s5, -v70
	v_fmac_f32_e32 v70, 0x3d64c772, v92
	v_fma_f32 v92, v157, s5, -v71
	v_fmac_f32_e32 v71, 0x3d64c772, v93
	v_sub_f32_e32 v64, v64, v69
	v_sub_f32_e32 v69, v167, v177
	v_add_f32_e32 v158, v66, v65
	v_add_f32_e32 v159, v68, v67
	v_sub_f32_e32 v160, v66, v65
	v_sub_f32_e32 v161, v68, v67
	v_add_f32_e32 v163, v71, v94
	v_add_f32_e32 v71, v152, v94
	v_add_lshl_u32 v152, v133, v134, 3
	v_sub_f32_e32 v66, v64, v66
	v_sub_f32_e32 v68, v69, v68
	v_sub_f32_e32 v65, v65, v64
	v_sub_f32_e32 v67, v67, v69
	v_add_f32_e32 v64, v158, v64
	v_add_f32_e32 v69, v159, v69
	v_mul_f32_e32 v158, 0xbf08b237, v160
	v_mul_f32_e32 v159, 0xbf08b237, v161
	ds_write2_b64 v152, v[48:49], v[52:53] offset1:36
	ds_write2_b64 v152, v[54:55], v[56:57] offset0:72 offset1:108
	ds_write2_b64 v152, v[58:59], v[60:61] offset0:144 offset1:180
	ds_write_b64 v152, v[62:63] offset:1728
	v_mad_u64_u32 v[56:57], s[0:1], v137, 48, s[14:15]
	v_mul_f32_e32 v160, 0x3f5ff5aa, v65
	v_mul_f32_e32 v161, 0x3f5ff5aa, v67
	v_fma_f32 v93, v65, s4, -v158
	v_fmac_f32_e32 v158, 0x3eae86e6, v66
	v_fma_f32 v156, v67, s4, -v159
	v_fmac_f32_e32 v159, 0x3eae86e6, v68
	v_fma_f32 v157, v66, s7, -v160
	v_fma_f32 v160, v68, s7, -v161
	v_add_f32_e32 v161, v70, v162
	v_fmac_f32_e32 v158, 0x3ee1c552, v64
	v_fmac_f32_e32 v159, 0x3ee1c552, v69
	v_mul_u32_u24_e32 v48, 0xfc, v135
	v_add_f32_e32 v70, v95, v162
	v_add_f32_e32 v95, v153, v162
	;; [unrolled: 1-line block ×3, first 2 shown]
	v_fmac_f32_e32 v93, 0x3ee1c552, v64
	v_fmac_f32_e32 v156, 0x3ee1c552, v69
	;; [unrolled: 1-line block ×4, first 2 shown]
	v_add_f32_e32 v64, v159, v161
	v_sub_f32_e32 v65, v163, v158
	v_add_lshl_u32 v153, v48, v136, 3
	v_add_f32_e32 v66, v160, v95
	v_sub_f32_e32 v67, v94, v157
	v_sub_f32_e32 v68, v70, v156
	v_add_f32_e32 v69, v93, v71
	v_add_f32_e32 v70, v156, v70
	v_sub_f32_e32 v71, v71, v93
	v_sub_f32_e32 v92, v95, v160
	v_add_f32_e32 v93, v157, v94
	v_sub_f32_e32 v94, v161, v159
	v_add_f32_e32 v95, v158, v163
	ds_write2_b64 v153, v[50:51], v[64:65] offset1:36
	ds_write2_b64 v153, v[66:67], v[68:69] offset0:72 offset1:108
	ds_write2_b64 v153, v[70:71], v[92:93] offset0:144 offset1:180
	ds_write_b64 v153, v[94:95] offset:1728
	s_waitcnt lgkmcnt(0)
	s_barrier
	global_load_dwordx4 v[60:63], v[56:57], off offset:2000
	global_load_dwordx4 v[52:55], v[56:57], off offset:2016
	;; [unrolled: 1-line block ×3, first 2 shown]
	s_movk_i32 s0, 0x1000
	v_add_co_u32_e64 v58, s[0:1], s0, v56
	v_addc_co_u32_e64 v59, s[0:1], 0, v57, s[0:1]
	global_load_dwordx4 v[68:71], v[58:59], off offset:3952
	s_movk_i32 s0, 0x1f70
	v_add_co_u32_e64 v56, s[0:1], s0, v56
	v_addc_co_u32_e64 v57, s[0:1], 0, v57, s[0:1]
	global_load_dwordx4 v[64:67], v[56:57], off offset:16
	s_nop 0
	global_load_dwordx4 v[56:59], v[56:57], off offset:32
	v_lshlrev_b32_e32 v92, 3, v137
	v_mov_b32_e32 v93, s13
	v_add_co_u32_e64 v176, s[0:1], s12, v92
	v_addc_co_u32_e64 v177, s[0:1], 0, v93, s[0:1]
	ds_read2_b64 v[92:95], v138 offset1:126
	ds_read2_b64 v[133:136], v155 offset0:124 offset1:250
	ds_read2_b64 v[156:159], v89 offset0:120 offset1:246
	;; [unrolled: 1-line block ×6, first 2 shown]
	s_movk_i32 s0, 0x3000
	s_waitcnt vmcnt(5) lgkmcnt(5)
	v_mul_f32_e32 v178, v134, v61
	v_fma_f32 v178, v133, v60, -v178
	v_mul_f32_e32 v133, v133, v61
	v_fmac_f32_e32 v133, v134, v60
	s_waitcnt lgkmcnt(4)
	v_mul_f32_e32 v134, v157, v63
	v_fma_f32 v134, v156, v62, -v134
	v_mul_f32_e32 v156, v156, v63
	v_fmac_f32_e32 v156, v157, v62
	s_waitcnt vmcnt(4) lgkmcnt(3)
	v_mul_f32_e32 v157, v161, v53
	v_fma_f32 v157, v160, v52, -v157
	v_mul_f32_e32 v160, v160, v53
	v_fmac_f32_e32 v160, v161, v52
	s_waitcnt lgkmcnt(2)
	v_mul_f32_e32 v161, v165, v55
	v_fma_f32 v161, v164, v54, -v161
	v_mul_f32_e32 v164, v164, v55
	v_fmac_f32_e32 v164, v165, v54
	;; [unrolled: 10-line block ×3, first 2 shown]
	s_waitcnt vmcnt(2)
	v_mul_f32_e32 v173, v136, v69
	v_fma_f32 v173, v135, v68, -v173
	v_mul_f32_e32 v179, v135, v69
	v_mul_f32_e32 v135, v159, v71
	v_fma_f32 v180, v158, v70, -v135
	s_waitcnt vmcnt(1)
	v_mul_f32_e32 v135, v163, v65
	v_fma_f32 v182, v162, v64, -v135
	v_mul_f32_e32 v135, v167, v67
	v_fma_f32 v184, v166, v66, -v135
	v_mul_f32_e32 v166, v166, v67
	s_waitcnt vmcnt(0)
	v_mul_f32_e32 v135, v171, v57
	v_mul_f32_e32 v181, v158, v71
	v_fmac_f32_e32 v166, v167, v66
	v_fma_f32 v167, v170, v56, -v135
	v_mul_f32_e32 v170, v170, v57
	v_mul_f32_e32 v135, v175, v59
	v_fmac_f32_e32 v181, v159, v70
	v_mul_f32_e32 v183, v162, v65
	v_fmac_f32_e32 v170, v171, v56
	v_fma_f32 v171, v174, v58, -v135
	v_add_f32_e32 v135, v178, v169
	v_add_f32_e32 v159, v134, v165
	v_fmac_f32_e32 v179, v136, v68
	v_fmac_f32_e32 v183, v163, v64
	v_add_f32_e32 v136, v133, v172
	v_add_f32_e32 v162, v156, v168
	;; [unrolled: 1-line block ×3, first 2 shown]
	v_sub_f32_e32 v157, v161, v157
	v_add_f32_e32 v161, v159, v135
	v_sub_f32_e32 v134, v134, v165
	v_add_f32_e32 v165, v160, v164
	;; [unrolled: 2-line block ×3, first 2 shown]
	v_add_f32_e32 v161, v163, v161
	v_mul_f32_e32 v174, v174, v59
	v_sub_f32_e32 v156, v156, v168
	v_sub_f32_e32 v168, v159, v135
	v_sub_f32_e32 v135, v135, v163
	v_sub_f32_e32 v159, v163, v159
	v_add_f32_e32 v163, v165, v164
	v_add_f32_e32 v92, v92, v161
	v_fmac_f32_e32 v174, v175, v58
	v_sub_f32_e32 v158, v178, v169
	v_sub_f32_e32 v133, v133, v172
	;; [unrolled: 1-line block ×5, first 2 shown]
	v_add_f32_e32 v172, v157, v134
	v_add_f32_e32 v175, v160, v156
	v_sub_f32_e32 v178, v157, v134
	v_sub_f32_e32 v185, v160, v156
	v_add_f32_e32 v93, v93, v163
	v_mov_b32_e32 v186, v92
	v_sub_f32_e32 v157, v158, v157
	v_sub_f32_e32 v160, v133, v160
	;; [unrolled: 1-line block ×4, first 2 shown]
	v_add_f32_e32 v158, v172, v158
	v_add_f32_e32 v133, v175, v133
	v_mul_f32_e32 v135, 0x3f4a47b2, v135
	v_mul_f32_e32 v136, 0x3f4a47b2, v136
	;; [unrolled: 1-line block ×6, first 2 shown]
	v_fmac_f32_e32 v186, 0xbf955555, v161
	v_mov_b32_e32 v161, v93
	v_mul_f32_e32 v178, 0x3f5ff5aa, v134
	v_mul_f32_e32 v185, 0x3f5ff5aa, v156
	v_fmac_f32_e32 v161, 0xbf955555, v163
	v_fma_f32 v163, v168, s6, -v164
	v_fma_f32 v164, v169, s6, -v165
	;; [unrolled: 1-line block ×3, first 2 shown]
	v_fmac_f32_e32 v135, 0x3d64c772, v159
	v_fma_f32 v159, v169, s5, -v136
	v_fmac_f32_e32 v136, 0x3d64c772, v162
	v_fma_f32 v162, v134, s4, -v172
	v_fma_f32 v168, v156, s4, -v175
	v_fmac_f32_e32 v172, 0x3eae86e6, v157
	v_fmac_f32_e32 v175, 0x3eae86e6, v160
	v_fma_f32 v169, v157, s7, -v178
	v_fma_f32 v160, v160, s7, -v185
	v_add_f32_e32 v163, v163, v186
	v_add_f32_e32 v164, v164, v161
	v_fmac_f32_e32 v162, 0x3ee1c552, v158
	v_fmac_f32_e32 v168, 0x3ee1c552, v133
	v_add_f32_e32 v178, v135, v186
	v_add_f32_e32 v185, v136, v161
	;; [unrolled: 1-line block ×4, first 2 shown]
	v_fmac_f32_e32 v172, 0x3ee1c552, v158
	v_fmac_f32_e32 v175, 0x3ee1c552, v133
	;; [unrolled: 1-line block ×4, first 2 shown]
	v_sub_f32_e32 v156, v163, v168
	v_add_f32_e32 v157, v162, v164
	v_add_f32_e32 v158, v168, v163
	v_sub_f32_e32 v159, v164, v162
	v_add_f32_e32 v164, v173, v171
	v_sub_f32_e32 v168, v173, v171
	v_add_f32_e32 v171, v180, v167
	v_add_f32_e32 v133, v175, v178
	v_sub_f32_e32 v134, v185, v172
	v_add_f32_e32 v135, v160, v165
	v_sub_f32_e32 v160, v165, v160
	v_sub_f32_e32 v162, v178, v175
	v_add_f32_e32 v163, v172, v185
	v_add_f32_e32 v165, v179, v174
	;; [unrolled: 1-line block ×5, first 2 shown]
	v_sub_f32_e32 v136, v161, v169
	v_add_f32_e32 v161, v169, v161
	v_sub_f32_e32 v169, v179, v174
	v_sub_f32_e32 v167, v180, v167
	v_add_f32_e32 v174, v183, v166
	v_add_f32_e32 v179, v172, v165
	v_sub_f32_e32 v180, v171, v164
	v_sub_f32_e32 v164, v164, v173
	v_sub_f32_e32 v171, v173, v171
	v_add_f32_e32 v173, v173, v178
	v_sub_f32_e32 v170, v181, v170
	v_sub_f32_e32 v175, v184, v182
	;; [unrolled: 1-line block ×6, first 2 shown]
	v_add_f32_e32 v174, v174, v179
	v_add_f32_e32 v94, v94, v173
	v_add_f32_e32 v182, v175, v167
	v_add_f32_e32 v183, v166, v170
	v_sub_f32_e32 v184, v175, v167
	v_sub_f32_e32 v185, v166, v170
	;; [unrolled: 1-line block ×4, first 2 shown]
	v_add_f32_e32 v95, v95, v174
	v_mov_b32_e32 v186, v94
	v_sub_f32_e32 v175, v168, v175
	v_sub_f32_e32 v166, v169, v166
	v_add_f32_e32 v168, v182, v168
	v_add_f32_e32 v169, v183, v169
	v_mul_f32_e32 v164, 0x3f4a47b2, v164
	v_mul_f32_e32 v165, 0x3f4a47b2, v165
	;; [unrolled: 1-line block ×8, first 2 shown]
	v_fmac_f32_e32 v186, 0xbf955555, v173
	v_mov_b32_e32 v173, v95
	v_fmac_f32_e32 v173, 0xbf955555, v174
	v_fma_f32 v174, v180, s6, -v178
	v_fma_f32 v178, v181, s6, -v179
	;; [unrolled: 1-line block ×3, first 2 shown]
	v_fmac_f32_e32 v164, 0x3d64c772, v171
	v_fma_f32 v171, v181, s5, -v165
	v_fmac_f32_e32 v165, 0x3d64c772, v172
	v_fma_f32 v172, v167, s4, -v182
	;; [unrolled: 2-line block ×4, first 2 shown]
	v_fma_f32 v180, v166, s7, -v185
	v_add_f32_e32 v181, v164, v186
	v_add_f32_e32 v184, v165, v173
	v_add_f32_e32 v174, v174, v186
	v_add_f32_e32 v178, v178, v173
	v_add_f32_e32 v179, v179, v186
	v_add_f32_e32 v173, v171, v173
	v_fmac_f32_e32 v182, 0x3ee1c552, v168
	v_fmac_f32_e32 v183, 0x3ee1c552, v169
	;; [unrolled: 1-line block ×6, first 2 shown]
	v_add_f32_e32 v164, v183, v181
	v_sub_f32_e32 v165, v184, v182
	v_add_f32_e32 v166, v180, v179
	v_sub_f32_e32 v167, v173, v175
	v_sub_f32_e32 v168, v174, v170
	v_add_f32_e32 v169, v172, v178
	v_add_f32_e32 v170, v170, v174
	v_sub_f32_e32 v171, v178, v172
	v_sub_f32_e32 v172, v179, v180
	v_add_f32_e32 v173, v175, v173
	v_sub_f32_e32 v174, v181, v183
	v_add_f32_e32 v175, v182, v184
	ds_write_b64 v138, v[133:134] offset:2016
	ds_write_b64 v138, v[135:136] offset:4032
	;; [unrolled: 1-line block ×6, first 2 shown]
	ds_write2_b64 v138, v[92:93], v[94:95] offset1:126
	ds_write_b64 v138, v[164:165] offset:3024
	ds_write_b64 v138, v[166:167] offset:5040
	;; [unrolled: 1-line block ×6, first 2 shown]
	v_add_co_u32_e64 v92, s[0:1], s0, v176
	v_addc_co_u32_e64 v93, s[0:1], 0, v177, s[0:1]
	s_waitcnt lgkmcnt(0)
	s_barrier
	global_load_dwordx2 v[133:134], v[92:93], off offset:1824
	s_movk_i32 s0, 0x5000
	v_add_co_u32_e64 v92, s[0:1], s0, v176
	v_addc_co_u32_e64 v93, s[0:1], 0, v177, s[0:1]
	global_load_dwordx2 v[156:157], v[92:93], off offset:688
	s_movk_i32 s4, 0x3720
	v_add_co_u32_e64 v94, s[0:1], s4, v176
	v_addc_co_u32_e64 v95, s[0:1], 0, v177, s[0:1]
	global_load_dwordx2 v[160:161], v[94:95], off offset:1008
	global_load_dwordx2 v[162:163], v[92:93], off offset:1696
	;; [unrolled: 1-line block ×7, first 2 shown]
	s_movk_i32 s0, 0x6000
	v_add_co_u32_e64 v92, s[0:1], s0, v176
	v_addc_co_u32_e64 v93, s[0:1], 0, v177, s[0:1]
	global_load_dwordx2 v[174:175], v[92:93], off offset:624
	s_movk_i32 s0, 0x4000
	v_add_co_u32_e64 v94, s[0:1], s0, v176
	v_addc_co_u32_e64 v95, s[0:1], 0, v177, s[0:1]
	global_load_dwordx2 v[176:177], v[94:95], off offset:2768
	global_load_dwordx2 v[178:179], v[92:93], off offset:1632
	global_load_dwordx2 v[180:181], v[94:95], off offset:3776
	global_load_dwordx2 v[182:183], v[92:93], off offset:2640
	ds_read2_b64 v[92:95], v138 offset1:126
	v_add_u32_e32 v186, 0x1800, v138
	s_waitcnt vmcnt(13) lgkmcnt(0)
	v_mul_f32_e32 v135, v93, v134
	v_mul_f32_e32 v136, v92, v134
	v_fma_f32 v135, v92, v133, -v135
	v_fmac_f32_e32 v136, v93, v133
	ds_write_b64 v138, v[135:136]
	ds_read2_b64 v[133:136], v91 offset0:116 offset1:242
	s_waitcnt vmcnt(12) lgkmcnt(0)
	v_mul_f32_e32 v92, v136, v157
	v_mul_f32_e32 v185, v135, v157
	v_fma_f32 v184, v135, v156, -v92
	v_fmac_f32_e32 v185, v136, v156
	ds_read2_b64 v[156:159], v90 offset0:112 offset1:238
	s_waitcnt vmcnt(11)
	v_mul_f32_e32 v92, v95, v161
	v_fma_f32 v135, v94, v160, -v92
	v_mul_f32_e32 v136, v94, v161
	v_fmac_f32_e32 v136, v95, v160
	s_waitcnt vmcnt(10) lgkmcnt(0)
	v_mul_f32_e32 v92, v157, v163
	v_fma_f32 v160, v156, v162, -v92
	ds_read2_b64 v[92:95], v155 offset0:124 offset1:250
	v_mul_f32_e32 v161, v156, v163
	v_fmac_f32_e32 v161, v157, v162
	ds_write2_b64 v186, v[184:185], v[160:161] offset0:114 offset1:240
	v_add_u32_e32 v184, 0x1000, v138
	s_waitcnt vmcnt(9) lgkmcnt(1)
	v_mul_f32_e32 v156, v93, v165
	v_mul_f32_e32 v157, v92, v165
	v_fma_f32 v156, v92, v164, -v156
	v_fmac_f32_e32 v157, v93, v164
	ds_write2_b64 v138, v[135:136], v[156:157] offset0:126 offset1:252
	s_waitcnt vmcnt(8)
	v_mul_f32_e32 v92, v159, v167
	v_mul_f32_e32 v136, v158, v167
	v_fma_f32 v135, v158, v166, -v92
	v_fmac_f32_e32 v136, v159, v166
	ds_read2_b64 v[156:159], v88 offset0:108 offset1:234
	s_waitcnt vmcnt(7)
	v_mul_f32_e32 v92, v95, v169
	v_fma_f32 v160, v94, v168, -v92
	v_mul_f32_e32 v161, v94, v169
	v_fmac_f32_e32 v161, v95, v168
	s_waitcnt vmcnt(6) lgkmcnt(0)
	v_mul_f32_e32 v92, v157, v171
	v_fma_f32 v162, v156, v170, -v92
	ds_read2_b64 v[92:95], v89 offset0:120 offset1:246
	v_mul_f32_e32 v163, v156, v171
	v_fmac_f32_e32 v163, v157, v170
	v_add_u32_e32 v156, 0x2000, v138
	ds_write2_b64 v156, v[135:136], v[162:163] offset0:110 offset1:236
	s_waitcnt vmcnt(5) lgkmcnt(1)
	v_mul_f32_e32 v135, v93, v173
	v_mul_f32_e32 v136, v92, v173
	v_fma_f32 v135, v92, v172, -v135
	v_fmac_f32_e32 v136, v93, v172
	v_add_u32_e32 v92, 0x800, v138
	ds_write2_b64 v92, v[160:161], v[135:136] offset0:122 offset1:248
	s_waitcnt vmcnt(4)
	v_mul_f32_e32 v92, v159, v175
	v_mul_f32_e32 v93, v158, v175
	v_fma_f32 v92, v158, v174, -v92
	v_fmac_f32_e32 v93, v159, v174
	ds_read2_b64 v[156:159], v154 offset0:104 offset1:230
	s_waitcnt vmcnt(3)
	v_mul_f32_e32 v135, v95, v177
	v_mul_f32_e32 v136, v94, v177
	v_fma_f32 v135, v94, v176, -v135
	v_fmac_f32_e32 v136, v95, v176
	s_waitcnt vmcnt(2) lgkmcnt(0)
	v_mul_f32_e32 v94, v157, v179
	v_mul_f32_e32 v95, v156, v179
	v_fma_f32 v94, v156, v178, -v94
	v_fmac_f32_e32 v95, v157, v178
	v_add_u32_e32 v156, 0x2800, v138
	ds_write2_b64 v156, v[92:93], v[94:95] offset0:106 offset1:232
	s_waitcnt vmcnt(1)
	v_mul_f32_e32 v92, v134, v181
	v_mul_f32_e32 v93, v133, v181
	v_fma_f32 v92, v133, v180, -v92
	v_fmac_f32_e32 v93, v134, v180
	ds_write2_b64 v184, v[135:136], v[92:93] offset0:118 offset1:244
	s_waitcnt vmcnt(0)
	v_mul_f32_e32 v92, v159, v183
	v_mul_f32_e32 v93, v158, v183
	v_fma_f32 v92, v158, v182, -v92
	v_fmac_f32_e32 v93, v159, v182
	ds_write_b64 v138, v[92:93] offset:13104
	s_waitcnt lgkmcnt(0)
	s_barrier
	ds_read2_b64 v[92:95], v138 offset1:126
	ds_read2_b64 v[133:136], v91 offset0:116 offset1:242
	ds_read2_b64 v[156:159], v90 offset0:112 offset1:238
	;; [unrolled: 1-line block ×6, first 2 shown]
	s_waitcnt lgkmcnt(4)
	v_sub_f32_e32 v182, v94, v156
	v_sub_f32_e32 v183, v95, v157
	v_fma_f32 v180, v94, 2.0, -v182
	v_fma_f32 v181, v95, 2.0, -v183
	s_waitcnt lgkmcnt(3)
	v_sub_f32_e32 v94, v160, v158
	v_sub_f32_e32 v95, v161, v159
	s_waitcnt lgkmcnt(2)
	v_sub_f32_e32 v158, v162, v164
	v_sub_f32_e32 v159, v163, v165
	;; [unrolled: 1-line block ×4, first 2 shown]
	v_fma_f32 v156, v162, 2.0, -v158
	v_fma_f32 v157, v163, 2.0, -v159
	s_waitcnt lgkmcnt(1)
	v_sub_f32_e32 v162, v168, v166
	v_sub_f32_e32 v163, v169, v167
	s_waitcnt lgkmcnt(0)
	v_sub_f32_e32 v166, v170, v172
	v_sub_f32_e32 v167, v171, v173
	;; [unrolled: 1-line block ×4, first 2 shown]
	v_fma_f32 v176, v92, 2.0, -v178
	v_fma_f32 v177, v93, 2.0, -v179
	;; [unrolled: 1-line block ×10, first 2 shown]
	s_barrier
	ds_write_b128 v74, v[176:179]
	ds_write_b128 v75, v[180:183]
	;; [unrolled: 1-line block ×7, first 2 shown]
	s_waitcnt lgkmcnt(0)
	s_barrier
	ds_read2_b64 v[74:77], v138 offset1:126
	ds_read2_b64 v[91:94], v91 offset0:116 offset1:242
	ds_read2_b64 v[133:136], v90 offset0:112 offset1:238
	;; [unrolled: 1-line block ×6, first 2 shown]
	s_waitcnt lgkmcnt(5)
	v_mul_f32_e32 v86, v73, v93
	v_mul_f32_e32 v78, v73, v94
	v_fma_f32 v86, v72, v94, -v86
	s_waitcnt lgkmcnt(4)
	v_mul_f32_e32 v87, v73, v134
	s_waitcnt lgkmcnt(2)
	v_mul_f32_e32 v94, v73, v160
	v_fmac_f32_e32 v78, v72, v93
	v_fmac_f32_e32 v87, v72, v133
	v_mul_f32_e32 v89, v73, v133
	v_mul_f32_e32 v90, v73, v136
	;; [unrolled: 1-line block ×3, first 2 shown]
	v_fma_f32 v133, v72, v161, -v94
	v_mul_f32_e32 v94, v73, v162
	v_fma_f32 v89, v72, v134, -v89
	v_fmac_f32_e32 v90, v72, v135
	v_fma_f32 v93, v72, v136, -v93
	v_mul_f32_e32 v134, v73, v163
	v_fma_f32 v135, v72, v163, -v94
	s_waitcnt lgkmcnt(0)
	v_mul_f32_e32 v136, v73, v169
	v_mul_f32_e32 v94, v73, v168
	;; [unrolled: 1-line block ×3, first 2 shown]
	v_fmac_f32_e32 v134, v72, v162
	v_fmac_f32_e32 v136, v72, v168
	v_fma_f32 v168, v72, v169, -v94
	v_mul_f32_e32 v169, v73, v171
	v_mul_f32_e32 v73, v73, v170
	v_fmac_f32_e32 v95, v72, v160
	v_fmac_f32_e32 v169, v72, v170
	v_fma_f32 v170, v72, v171, -v73
	v_sub_f32_e32 v72, v74, v78
	v_sub_f32_e32 v73, v75, v86
	;; [unrolled: 1-line block ×8, first 2 shown]
	v_fma_f32 v74, v74, 2.0, -v72
	v_fma_f32 v75, v75, 2.0, -v73
	;; [unrolled: 1-line block ×6, first 2 shown]
	v_sub_f32_e32 v156, v158, v95
	v_sub_f32_e32 v157, v159, v133
	v_fma_f32 v162, v164, 2.0, -v160
	v_fma_f32 v163, v165, 2.0, -v161
	v_sub_f32_e32 v164, v166, v136
	v_sub_f32_e32 v165, v167, v168
	;; [unrolled: 1-line block ×4, first 2 shown]
	v_fma_f32 v158, v158, 2.0, -v156
	v_fma_f32 v159, v159, 2.0, -v157
	;; [unrolled: 1-line block ×6, first 2 shown]
	s_barrier
	ds_write2_b64 v79, v[74:75], v[72:73] offset1:2
	ds_write2_b64 v80, v[76:77], v[86:87] offset1:2
	;; [unrolled: 1-line block ×7, first 2 shown]
	s_waitcnt lgkmcnt(0)
	s_barrier
	ds_read2_b64 v[76:79], v138 offset1:126
	ds_read2_b64 v[92:95], v184 offset0:76 offset1:202
	ds_read2_b64 v[88:91], v88 offset0:24 offset1:150
	;; [unrolled: 1-line block ×5, first 2 shown]
	s_and_saveexec_b64 s[0:1], vcc
	s_cbranch_execz .LBB0_11
; %bb.10:
	ds_read_b64 v[133:134], v138 offset:4032
	ds_read_b64 v[135:136], v138 offset:8736
	;; [unrolled: 1-line block ×3, first 2 shown]
.LBB0_11:
	s_or_b64 exec, exec, s[0:1]
	s_waitcnt lgkmcnt(4)
	v_mul_f32_e32 v154, v1, v93
	v_fmac_f32_e32 v154, v0, v92
	v_mul_f32_e32 v92, v1, v92
	v_fma_f32 v92, v0, v93, -v92
	s_waitcnt lgkmcnt(3)
	v_mul_f32_e32 v93, v3, v89
	v_fmac_f32_e32 v93, v2, v88
	v_mul_f32_e32 v88, v3, v88
	v_fma_f32 v88, v2, v89, -v88
	v_mul_f32_e32 v89, v126, v95
	v_fmac_f32_e32 v89, v141, v94
	v_mul_f32_e32 v94, v126, v94
	v_fma_f32 v94, v141, v95, -v94
	v_mul_f32_e32 v95, v128, v91
	v_fmac_f32_e32 v95, v130, v90
	v_mul_f32_e32 v90, v128, v90
	s_waitcnt lgkmcnt(0)
	v_mul_f32_e32 v128, v3, v81
	v_fmac_f32_e32 v128, v2, v80
	v_mul_f32_e32 v80, v3, v80
	v_fma_f32 v90, v130, v91, -v90
	v_mul_f32_e32 v91, v1, v85
	v_fma_f32 v130, v2, v81, -v80
	v_mul_f32_e32 v141, v129, v87
	v_mul_f32_e32 v80, v129, v86
	v_fmac_f32_e32 v91, v0, v84
	v_mul_f32_e32 v84, v1, v84
	v_fmac_f32_e32 v141, v125, v86
	v_fma_f32 v125, v125, v87, -v80
	v_mul_f32_e32 v129, v140, v83
	v_mul_f32_e32 v80, v140, v82
	;; [unrolled: 1-line block ×4, first 2 shown]
	v_fma_f32 v126, v0, v85, -v84
	v_fmac_f32_e32 v140, v0, v135
	v_fma_f32 v135, v0, v136, -v1
	v_mul_f32_e32 v136, v3, v132
	v_mul_f32_e32 v0, v3, v131
	v_add_f32_e32 v1, v154, v93
	v_fmac_f32_e32 v136, v2, v131
	v_fma_f32 v131, v2, v132, -v0
	v_fma_f32 v2, -0.5, v1, v76
	v_add_f32_e32 v3, v92, v88
	v_add_f32_e32 v0, v76, v154
	v_sub_f32_e32 v1, v92, v88
	v_mov_b32_e32 v76, v2
	v_fma_f32 v3, -0.5, v3, v77
	v_fmac_f32_e32 v129, v127, v82
	v_fma_f32 v127, v127, v83, -v80
	v_fmac_f32_e32 v76, 0xbf5db3d7, v1
	v_fmac_f32_e32 v2, 0x3f5db3d7, v1
	v_add_f32_e32 v1, v77, v92
	v_sub_f32_e32 v80, v154, v93
	v_mov_b32_e32 v77, v3
	v_add_f32_e32 v81, v89, v95
	v_fmac_f32_e32 v77, 0x3f5db3d7, v80
	v_fmac_f32_e32 v3, 0xbf5db3d7, v80
	v_add_f32_e32 v80, v78, v89
	v_fma_f32 v78, -0.5, v81, v78
	v_sub_f32_e32 v81, v94, v90
	v_mov_b32_e32 v82, v78
	v_add_f32_e32 v83, v94, v90
	v_fmac_f32_e32 v82, 0xbf5db3d7, v81
	v_fmac_f32_e32 v78, 0x3f5db3d7, v81
	v_add_f32_e32 v81, v79, v94
	v_fmac_f32_e32 v79, -0.5, v83
	v_sub_f32_e32 v84, v89, v95
	v_mov_b32_e32 v83, v79
	v_add_f32_e32 v85, v91, v128
	v_fmac_f32_e32 v83, 0x3f5db3d7, v84
	v_fmac_f32_e32 v79, 0xbf5db3d7, v84
	v_add_f32_e32 v84, v72, v91
	v_fma_f32 v72, -0.5, v85, v72
	v_sub_f32_e32 v85, v126, v130
	v_mov_b32_e32 v86, v72
	v_add_f32_e32 v87, v126, v130
	v_fmac_f32_e32 v86, 0xbf5db3d7, v85
	v_fmac_f32_e32 v72, 0x3f5db3d7, v85
	v_add_f32_e32 v85, v73, v126
	v_fma_f32 v73, -0.5, v87, v73
	v_add_f32_e32 v1, v1, v88
	v_sub_f32_e32 v88, v91, v128
	v_mov_b32_e32 v87, v73
	v_add_f32_e32 v89, v141, v129
	v_fmac_f32_e32 v87, 0x3f5db3d7, v88
	v_fmac_f32_e32 v73, 0xbf5db3d7, v88
	v_add_f32_e32 v88, v74, v141
	v_fma_f32 v74, -0.5, v89, v74
	v_add_f32_e32 v81, v81, v90
	v_sub_f32_e32 v89, v125, v127
	v_mov_b32_e32 v90, v74
	v_add_f32_e32 v91, v125, v127
	v_fmac_f32_e32 v90, 0xbf5db3d7, v89
	v_fmac_f32_e32 v74, 0x3f5db3d7, v89
	v_add_f32_e32 v89, v75, v125
	v_fmac_f32_e32 v75, -0.5, v91
	v_add_f32_e32 v0, v0, v93
	v_sub_f32_e32 v92, v141, v129
	v_mov_b32_e32 v91, v75
	v_add_f32_e32 v93, v140, v136
	v_fmac_f32_e32 v91, 0x3f5db3d7, v92
	v_fmac_f32_e32 v75, 0xbf5db3d7, v92
	v_add_f32_e32 v92, v140, v133
	v_fmac_f32_e32 v133, -0.5, v93
	;; [unrolled: 8-line block ×3, first 2 shown]
	v_sub_f32_e32 v125, v140, v136
	v_mov_b32_e32 v95, v134
	v_add_f32_e32 v92, v92, v136
	v_add_f32_e32 v93, v131, v93
	v_fmac_f32_e32 v95, 0x3f5db3d7, v125
	v_fmac_f32_e32 v134, 0xbf5db3d7, v125
	v_add_f32_e32 v84, v84, v128
	v_add_f32_e32 v85, v85, v130
	;; [unrolled: 1-line block ×4, first 2 shown]
	s_barrier
	ds_write2_b64 v142, v[0:1], v[76:77] offset1:4
	ds_write_b64 v142, v[2:3] offset:64
	ds_write2_b64 v143, v[80:81], v[82:83] offset1:4
	ds_write_b64 v143, v[78:79] offset:64
	;; [unrolled: 2-line block ×4, first 2 shown]
	s_and_saveexec_b64 s[0:1], vcc
	s_cbranch_execz .LBB0_13
; %bb.12:
	v_mul_u32_u24_e32 v0, 12, v146
	v_or_b32_e32 v0, v0, v139
	v_lshlrev_b32_e32 v0, 3, v0
	ds_write2_b64 v0, v[92:93], v[94:95] offset1:4
	ds_write_b64 v0, v[133:134] offset:64
.LBB0_13:
	s_or_b64 exec, exec, s[0:1]
	v_add_u32_e32 v0, 0x1000, v138
	s_waitcnt lgkmcnt(0)
	s_barrier
	ds_read2_b64 v[88:91], v0 offset0:76 offset1:202
	v_add_u32_e32 v0, 0x2400, v138
	v_add_u32_e32 v76, 0x1800, v138
	ds_read2_b64 v[84:87], v0 offset0:24 offset1:150
	v_add_u32_e32 v0, 0x400, v138
	ds_read2_b64 v[80:83], v76 offset0:72 offset1:198
	v_add_u32_e32 v76, 0x2c00, v138
	ds_read2_b64 v[72:75], v138 offset1:126
	ds_read2_b64 v[0:3], v0 offset0:124 offset1:250
	ds_read2_b64 v[76:79], v76 offset0:20 offset1:146
	s_and_saveexec_b64 s[0:1], vcc
	s_cbranch_execz .LBB0_15
; %bb.14:
	ds_read_b64 v[92:93], v138 offset:4032
	ds_read_b64 v[94:95], v138 offset:8736
	;; [unrolled: 1-line block ×3, first 2 shown]
.LBB0_15:
	s_or_b64 exec, exec, s[0:1]
	s_waitcnt lgkmcnt(5)
	v_mul_f32_e32 v125, v13, v89
	v_fmac_f32_e32 v125, v12, v88
	v_mul_f32_e32 v13, v13, v88
	s_waitcnt lgkmcnt(4)
	v_mul_f32_e32 v88, v15, v85
	v_fma_f32 v13, v12, v89, -v13
	v_fmac_f32_e32 v88, v14, v84
	v_mul_f32_e32 v12, v15, v84
	v_mul_f32_e32 v84, v9, v91
	v_mul_f32_e32 v9, v9, v90
	v_fma_f32 v14, v14, v85, -v12
	v_fmac_f32_e32 v84, v8, v90
	v_fma_f32 v85, v8, v91, -v9
	v_mul_f32_e32 v89, v11, v87
	v_mul_f32_e32 v8, v11, v86
	v_add_f32_e32 v9, v125, v88
	v_fmac_f32_e32 v89, v10, v86
	v_fma_f32 v86, v10, v87, -v8
	s_waitcnt lgkmcnt(2)
	v_fma_f32 v10, -0.5, v9, v72
	v_sub_f32_e32 v9, v13, v14
	v_mov_b32_e32 v12, v10
	v_add_f32_e32 v11, v13, v14
	v_mul_f32_e32 v87, v21, v81
	v_mul_f32_e32 v8, v21, v80
	v_fmac_f32_e32 v12, 0xbf5db3d7, v9
	v_fmac_f32_e32 v10, 0x3f5db3d7, v9
	v_add_f32_e32 v9, v73, v13
	v_fma_f32 v11, -0.5, v11, v73
	v_fmac_f32_e32 v87, v20, v80
	v_fma_f32 v21, v20, v81, -v8
	s_waitcnt lgkmcnt(0)
	v_mul_f32_e32 v80, v23, v77
	v_mul_f32_e32 v8, v23, v76
	v_add_f32_e32 v9, v9, v14
	v_sub_f32_e32 v14, v125, v88
	v_mov_b32_e32 v13, v11
	v_add_f32_e32 v15, v84, v89
	v_fmac_f32_e32 v80, v22, v76
	v_fma_f32 v22, v22, v77, -v8
	v_mul_f32_e32 v76, v17, v83
	v_mul_f32_e32 v8, v17, v82
	v_fmac_f32_e32 v13, 0x3f5db3d7, v14
	v_fmac_f32_e32 v11, 0xbf5db3d7, v14
	v_add_f32_e32 v14, v74, v84
	v_fma_f32 v74, -0.5, v15, v74
	v_fmac_f32_e32 v76, v16, v82
	v_fma_f32 v77, v16, v83, -v8
	v_sub_f32_e32 v15, v85, v86
	v_mov_b32_e32 v16, v74
	v_add_f32_e32 v17, v85, v86
	v_mul_f32_e32 v81, v19, v79
	v_mul_f32_e32 v8, v19, v78
	v_fmac_f32_e32 v16, 0xbf5db3d7, v15
	v_fmac_f32_e32 v74, 0x3f5db3d7, v15
	v_add_f32_e32 v15, v75, v85
	v_fmac_f32_e32 v75, -0.5, v17
	v_fmac_f32_e32 v81, v18, v78
	v_fma_f32 v78, v18, v79, -v8
	v_sub_f32_e32 v18, v84, v89
	v_mov_b32_e32 v17, v75
	v_add_f32_e32 v19, v87, v80
	v_fmac_f32_e32 v17, 0x3f5db3d7, v18
	v_fmac_f32_e32 v75, 0xbf5db3d7, v18
	v_add_f32_e32 v18, v0, v87
	v_fma_f32 v0, -0.5, v19, v0
	v_sub_f32_e32 v19, v21, v22
	v_mov_b32_e32 v20, v0
	v_fmac_f32_e32 v20, 0xbf5db3d7, v19
	v_fmac_f32_e32 v0, 0x3f5db3d7, v19
	v_add_f32_e32 v19, v1, v21
	v_add_f32_e32 v21, v21, v22
	v_fma_f32 v1, -0.5, v21, v1
	v_add_f32_e32 v19, v19, v22
	v_sub_f32_e32 v22, v87, v80
	v_mov_b32_e32 v21, v1
	v_add_f32_e32 v23, v76, v81
	v_fmac_f32_e32 v21, 0x3f5db3d7, v22
	v_fmac_f32_e32 v1, 0xbf5db3d7, v22
	v_add_f32_e32 v22, v2, v76
	v_fma_f32 v2, -0.5, v23, v2
	v_add_f32_e32 v8, v72, v125
	v_sub_f32_e32 v23, v77, v78
	v_mov_b32_e32 v72, v2
	v_add_f32_e32 v73, v77, v78
	v_fmac_f32_e32 v72, 0xbf5db3d7, v23
	v_fmac_f32_e32 v2, 0x3f5db3d7, v23
	v_add_f32_e32 v23, v3, v77
	v_fmac_f32_e32 v3, -0.5, v73
	v_add_f32_e32 v8, v8, v88
	v_sub_f32_e32 v76, v76, v81
	v_mov_b32_e32 v73, v3
	v_add_f32_e32 v14, v14, v89
	v_add_f32_e32 v15, v15, v86
	;; [unrolled: 1-line block ×5, first 2 shown]
	v_fmac_f32_e32 v73, 0x3f5db3d7, v76
	v_fmac_f32_e32 v3, 0xbf5db3d7, v76
	s_barrier
	ds_write2_b64 v148, v[8:9], v[12:13] offset1:12
	ds_write_b64 v148, v[10:11] offset:192
	ds_write2_b64 v149, v[14:15], v[16:17] offset1:12
	ds_write_b64 v149, v[74:75] offset:192
	;; [unrolled: 2-line block ×4, first 2 shown]
	s_and_saveexec_b64 s[0:1], vcc
	s_cbranch_execz .LBB0_17
; %bb.16:
	v_mul_f32_e32 v0, v7, v133
	v_fma_f32 v2, v6, v134, -v0
	v_mul_f32_e32 v0, v5, v94
	v_fma_f32 v8, v4, v95, -v0
	v_mul_f32_e32 v5, v5, v95
	v_add_f32_e32 v0, v8, v93
	v_fmac_f32_e32 v5, v4, v94
	v_mul_f32_e32 v4, v7, v134
	v_add_f32_e32 v1, v2, v0
	v_add_f32_e32 v0, v5, v92
	v_fmac_f32_e32 v4, v6, v133
	v_add_f32_e32 v0, v0, v4
	v_sub_f32_e32 v6, v5, v4
	v_add_f32_e32 v4, v5, v4
	v_add_f32_e32 v3, v8, v2
	v_fmac_f32_e32 v92, -0.5, v4
	v_fmac_f32_e32 v93, -0.5, v3
	v_sub_f32_e32 v4, v8, v2
	v_mov_b32_e32 v2, v92
	v_mov_b32_e32 v3, v93
	v_fmac_f32_e32 v93, 0x3f5db3d7, v6
	v_fmac_f32_e32 v2, 0x3f5db3d7, v4
	;; [unrolled: 1-line block ×3, first 2 shown]
	v_lshlrev_b32_e32 v4, 3, v147
	v_fmac_f32_e32 v3, 0xbf5db3d7, v6
	ds_write2_b64 v4, v[0:1], v[92:93] offset1:12
	ds_write_b64 v4, v[2:3] offset:192
.LBB0_17:
	s_or_b64 exec, exec, s[0:1]
	v_add_u32_e32 v5, 0x400, v138
	s_waitcnt lgkmcnt(0)
	s_barrier
	ds_read2_b64 v[12:15], v5 offset0:124 offset1:250
	v_add_u32_e32 v3, 0xc00, v138
	ds_read2_b64 v[16:19], v3 offset0:120 offset1:246
	v_add_u32_e32 v7, 0x1400, v138
	ds_read2_b64 v[20:23], v7 offset0:116 offset1:242
	v_add_u32_e32 v6, 0x1c00, v138
	s_waitcnt lgkmcnt(2)
	v_mul_f32_e32 v84, v33, v13
	ds_read2_b64 v[72:75], v6 offset0:112 offset1:238
	v_add_u32_e32 v4, 0x2400, v138
	v_add_u32_e32 v2, 0x2c00, v138
	v_fmac_f32_e32 v84, v32, v12
	v_mul_f32_e32 v12, v33, v12
	ds_read2_b64 v[76:79], v4 offset0:108 offset1:234
	ds_read2_b64 v[80:83], v2 offset0:104 offset1:230
	v_fma_f32 v12, v32, v13, -v12
	s_waitcnt lgkmcnt(4)
	v_mul_f32_e32 v13, v35, v17
	v_mul_f32_e32 v33, v41, v15
	v_fmac_f32_e32 v13, v34, v16
	v_mul_f32_e32 v16, v35, v16
	v_fmac_f32_e32 v33, v40, v14
	v_mul_f32_e32 v14, v41, v14
	v_fma_f32 v16, v34, v17, -v16
	v_fma_f32 v34, v40, v15, -v14
	v_mul_f32_e32 v14, v43, v18
	s_waitcnt lgkmcnt(3)
	v_mul_f32_e32 v17, v25, v21
	v_fma_f32 v40, v42, v19, -v14
	v_mul_f32_e32 v41, v37, v23
	v_mul_f32_e32 v14, v37, v22
	v_fmac_f32_e32 v17, v24, v20
	v_mul_f32_e32 v20, v25, v20
	v_fmac_f32_e32 v41, v36, v22
	v_fma_f32 v36, v36, v23, -v14
	s_waitcnt lgkmcnt(2)
	v_mul_f32_e32 v37, v39, v75
	v_mul_f32_e32 v14, v39, v74
	ds_read2_b64 v[8:11], v138 offset1:126
	v_fma_f32 v20, v24, v21, -v20
	v_mul_f32_e32 v21, v27, v73
	v_mul_f32_e32 v24, v27, v72
	s_waitcnt lgkmcnt(2)
	v_mul_f32_e32 v25, v45, v77
	s_waitcnt lgkmcnt(1)
	v_mul_f32_e32 v27, v47, v81
	v_fmac_f32_e32 v37, v38, v74
	v_fma_f32 v38, v38, v75, -v14
	v_mul_f32_e32 v39, v29, v79
	v_mul_f32_e32 v14, v29, v78
	v_fmac_f32_e32 v21, v26, v72
	v_fma_f32 v24, v26, v73, -v24
	v_fmac_f32_e32 v25, v44, v76
	v_mul_f32_e32 v26, v45, v76
	v_fmac_f32_e32 v27, v46, v80
	v_mul_f32_e32 v32, v47, v80
	v_fmac_f32_e32 v39, v28, v78
	v_fma_f32 v28, v28, v79, -v14
	v_mul_f32_e32 v29, v31, v83
	v_mul_f32_e32 v14, v31, v82
	v_fma_f32 v26, v44, v77, -v26
	v_fma_f32 v32, v46, v81, -v32
	v_mul_f32_e32 v35, v43, v19
	v_fmac_f32_e32 v29, v30, v82
	v_fma_f32 v30, v30, v83, -v14
	v_add_f32_e32 v14, v84, v27
	v_add_f32_e32 v19, v13, v25
	;; [unrolled: 1-line block ×5, first 2 shown]
	v_sub_f32_e32 v17, v21, v17
	v_add_f32_e32 v21, v19, v14
	v_sub_f32_e32 v13, v13, v25
	v_add_f32_e32 v25, v20, v24
	;; [unrolled: 2-line block ×3, first 2 shown]
	v_add_f32_e32 v21, v23, v21
	v_sub_f32_e32 v16, v16, v26
	v_sub_f32_e32 v26, v19, v14
	;; [unrolled: 1-line block ×4, first 2 shown]
	v_add_f32_e32 v23, v25, v24
	s_waitcnt lgkmcnt(0)
	v_add_f32_e32 v8, v8, v21
	v_mad_u64_u32 v[0:1], s[0:1], s10, v112, 0
	v_fmac_f32_e32 v35, v42, v18
	v_sub_f32_e32 v18, v84, v27
	v_sub_f32_e32 v12, v12, v32
	;; [unrolled: 1-line block ×5, first 2 shown]
	v_add_f32_e32 v31, v17, v13
	v_add_f32_e32 v32, v20, v16
	v_sub_f32_e32 v42, v17, v13
	v_sub_f32_e32 v43, v20, v16
	v_add_f32_e32 v9, v9, v23
	v_mov_b32_e32 v44, v8
	v_sub_f32_e32 v17, v18, v17
	v_sub_f32_e32 v20, v12, v20
	;; [unrolled: 1-line block ×4, first 2 shown]
	v_add_f32_e32 v18, v31, v18
	v_add_f32_e32 v12, v32, v12
	v_mul_f32_e32 v14, 0x3f4a47b2, v14
	v_mul_f32_e32 v15, 0x3f4a47b2, v15
	;; [unrolled: 1-line block ×6, first 2 shown]
	s_mov_b32 s0, 0xbf5ff5aa
	v_fmac_f32_e32 v44, 0xbf955555, v21
	v_mov_b32_e32 v21, v9
	s_mov_b32 s4, 0x3f3bfb3b
	s_mov_b32 s1, 0xbf3bfb3b
	v_mul_f32_e32 v42, 0xbf5ff5aa, v13
	v_mul_f32_e32 v43, 0xbf5ff5aa, v16
	v_fmac_f32_e32 v21, 0xbf955555, v23
	v_fma_f32 v23, v26, s4, -v24
	v_fma_f32 v24, v27, s4, -v25
	;; [unrolled: 1-line block ×3, first 2 shown]
	v_fmac_f32_e32 v14, 0x3d64c772, v19
	v_fma_f32 v19, v27, s1, -v15
	v_fmac_f32_e32 v15, 0x3d64c772, v22
	v_fma_f32 v22, v13, s0, -v31
	v_fma_f32 v26, v16, s0, -v32
	s_mov_b32 s5, 0x3eae86e6
	v_fmac_f32_e32 v31, 0xbeae86e6, v17
	v_fmac_f32_e32 v32, 0xbeae86e6, v20
	v_fma_f32 v27, v17, s5, -v42
	v_fma_f32 v20, v20, s5, -v43
	v_add_f32_e32 v23, v23, v44
	v_add_f32_e32 v24, v24, v21
	v_fmac_f32_e32 v22, 0xbee1c552, v18
	v_fmac_f32_e32 v26, 0xbee1c552, v12
	v_add_f32_e32 v42, v14, v44
	v_add_f32_e32 v43, v15, v21
	;; [unrolled: 1-line block ×4, first 2 shown]
	v_fmac_f32_e32 v31, 0xbee1c552, v18
	v_fmac_f32_e32 v32, 0xbee1c552, v12
	v_fmac_f32_e32 v27, 0xbee1c552, v18
	v_fmac_f32_e32 v20, 0xbee1c552, v12
	v_sub_f32_e32 v16, v23, v26
	v_add_f32_e32 v17, v22, v24
	v_add_f32_e32 v18, v26, v23
	v_sub_f32_e32 v19, v24, v22
	v_add_f32_e32 v24, v33, v29
	v_sub_f32_e32 v26, v33, v29
	v_add_f32_e32 v29, v35, v39
	v_add_f32_e32 v12, v32, v42
	v_sub_f32_e32 v13, v43, v31
	v_add_f32_e32 v14, v20, v25
	v_sub_f32_e32 v15, v21, v27
	v_sub_f32_e32 v20, v25, v20
	v_add_f32_e32 v21, v27, v21
	v_sub_f32_e32 v22, v42, v32
	v_add_f32_e32 v23, v31, v43
	v_add_f32_e32 v25, v34, v30
	v_sub_f32_e32 v27, v34, v30
	v_add_f32_e32 v30, v40, v28
	v_sub_f32_e32 v31, v35, v39
	v_add_f32_e32 v32, v41, v37
	v_add_f32_e32 v33, v36, v38
	v_sub_f32_e32 v35, v38, v36
	v_add_f32_e32 v36, v29, v24
	v_sub_f32_e32 v34, v37, v41
	;; [unrolled: 2-line block ×3, first 2 shown]
	v_sub_f32_e32 v24, v24, v32
	v_sub_f32_e32 v29, v32, v29
	v_add_f32_e32 v32, v32, v36
	v_sub_f32_e32 v28, v40, v28
	v_sub_f32_e32 v39, v30, v25
	;; [unrolled: 1-line block ×4, first 2 shown]
	v_add_f32_e32 v33, v33, v37
	v_add_f32_e32 v10, v10, v32
	;; [unrolled: 1-line block ×4, first 2 shown]
	v_sub_f32_e32 v42, v34, v31
	v_sub_f32_e32 v43, v35, v28
	;; [unrolled: 1-line block ×4, first 2 shown]
	v_add_f32_e32 v11, v11, v33
	v_mov_b32_e32 v44, v10
	v_sub_f32_e32 v34, v26, v34
	v_sub_f32_e32 v35, v27, v35
	v_add_f32_e32 v26, v40, v26
	v_add_f32_e32 v27, v41, v27
	v_mul_f32_e32 v24, 0x3f4a47b2, v24
	v_mul_f32_e32 v25, 0x3f4a47b2, v25
	;; [unrolled: 1-line block ×8, first 2 shown]
	v_fmac_f32_e32 v44, 0xbf955555, v32
	v_mov_b32_e32 v32, v11
	v_fmac_f32_e32 v32, 0xbf955555, v33
	v_fma_f32 v33, v38, s4, -v36
	v_fma_f32 v36, v39, s4, -v37
	;; [unrolled: 1-line block ×3, first 2 shown]
	v_fmac_f32_e32 v24, 0x3d64c772, v29
	v_fma_f32 v29, v39, s1, -v25
	v_fmac_f32_e32 v25, 0x3d64c772, v30
	v_fma_f32 v31, v31, s0, -v40
	v_fmac_f32_e32 v40, 0xbeae86e6, v34
	v_fma_f32 v30, v28, s0, -v41
	v_fmac_f32_e32 v41, 0xbeae86e6, v35
	v_fma_f32 v34, v34, s5, -v42
	v_fma_f32 v35, v35, s5, -v43
	v_add_f32_e32 v38, v24, v44
	v_add_f32_e32 v39, v25, v32
	;; [unrolled: 1-line block ×6, first 2 shown]
	v_fmac_f32_e32 v40, 0xbee1c552, v26
	v_fmac_f32_e32 v41, 0xbee1c552, v27
	;; [unrolled: 1-line block ×6, first 2 shown]
	v_add_f32_e32 v24, v41, v38
	v_sub_f32_e32 v25, v39, v40
	v_add_f32_e32 v26, v35, v37
	v_sub_f32_e32 v27, v42, v34
	v_sub_f32_e32 v28, v33, v30
	v_add_f32_e32 v29, v31, v36
	v_add_f32_e32 v30, v30, v33
	v_sub_f32_e32 v31, v36, v31
	v_sub_f32_e32 v32, v37, v35
	v_add_f32_e32 v33, v34, v42
	v_sub_f32_e32 v34, v38, v41
	v_add_f32_e32 v35, v40, v39
	s_barrier
	ds_write2_b64 v152, v[8:9], v[12:13] offset1:36
	ds_write2_b64 v152, v[14:15], v[16:17] offset0:72 offset1:108
	ds_write2_b64 v152, v[18:19], v[20:21] offset0:144 offset1:180
	ds_write_b64 v152, v[22:23] offset:1728
	ds_write2_b64 v153, v[10:11], v[24:25] offset1:36
	ds_write2_b64 v153, v[26:27], v[28:29] offset0:72 offset1:108
	ds_write2_b64 v153, v[30:31], v[32:33] offset0:144 offset1:180
	ds_write_b64 v153, v[34:35] offset:1728
	s_waitcnt lgkmcnt(0)
	s_barrier
	ds_read2_b64 v[8:11], v138 offset1:126
	ds_read2_b64 v[12:15], v5 offset0:124 offset1:250
	ds_read2_b64 v[16:19], v3 offset0:120 offset1:246
	;; [unrolled: 1-line block ×6, first 2 shown]
	s_waitcnt lgkmcnt(5)
	v_mul_f32_e32 v36, v61, v13
	v_fmac_f32_e32 v36, v60, v12
	v_mul_f32_e32 v12, v61, v12
	v_fma_f32 v12, v60, v13, -v12
	s_waitcnt lgkmcnt(4)
	v_mul_f32_e32 v13, v63, v17
	v_fmac_f32_e32 v13, v62, v16
	v_mul_f32_e32 v16, v63, v16
	v_fma_f32 v16, v62, v17, -v16
	;; [unrolled: 5-line block ×6, first 2 shown]
	v_mul_f32_e32 v33, v69, v15
	v_fmac_f32_e32 v33, v68, v14
	v_mul_f32_e32 v14, v69, v14
	v_fma_f32 v37, v68, v15, -v14
	v_mul_f32_e32 v14, v71, v18
	v_fma_f32 v39, v70, v19, -v14
	;; [unrolled: 2-line block ×3, first 2 shown]
	v_mul_f32_e32 v42, v67, v27
	v_mul_f32_e32 v14, v67, v26
	v_fmac_f32_e32 v42, v66, v26
	v_fma_f32 v26, v66, v27, -v14
	v_mul_f32_e32 v27, v57, v31
	v_mul_f32_e32 v14, v57, v30
	v_fmac_f32_e32 v27, v56, v30
	v_fma_f32 v30, v56, v31, -v14
	v_mul_f32_e32 v31, v59, v35
	v_mul_f32_e32 v14, v59, v34
	;; [unrolled: 1-line block ×4, first 2 shown]
	v_fmac_f32_e32 v31, v58, v34
	v_fma_f32 v34, v58, v35, -v14
	v_add_f32_e32 v14, v36, v29
	v_add_f32_e32 v19, v13, v25
	v_fmac_f32_e32 v40, v64, v22
	v_add_f32_e32 v15, v12, v32
	v_add_f32_e32 v22, v16, v28
	;; [unrolled: 1-line block ×3, first 2 shown]
	v_sub_f32_e32 v17, v21, v17
	v_add_f32_e32 v21, v19, v14
	v_sub_f32_e32 v13, v13, v25
	v_add_f32_e32 v25, v20, v24
	;; [unrolled: 2-line block ×3, first 2 shown]
	v_add_f32_e32 v21, v23, v21
	v_sub_f32_e32 v16, v16, v28
	v_sub_f32_e32 v28, v19, v14
	;; [unrolled: 1-line block ×4, first 2 shown]
	v_add_f32_e32 v23, v25, v24
	v_add_f32_e32 v8, v8, v21
	v_fmac_f32_e32 v38, v70, v18
	v_sub_f32_e32 v18, v36, v29
	v_sub_f32_e32 v12, v12, v32
	;; [unrolled: 1-line block ×5, first 2 shown]
	v_add_f32_e32 v32, v17, v13
	v_add_f32_e32 v35, v20, v16
	v_sub_f32_e32 v36, v17, v13
	v_sub_f32_e32 v43, v20, v16
	v_add_f32_e32 v9, v9, v23
	v_mov_b32_e32 v44, v8
	v_sub_f32_e32 v17, v18, v17
	v_sub_f32_e32 v20, v12, v20
	v_sub_f32_e32 v13, v13, v18
	v_sub_f32_e32 v16, v16, v12
	v_add_f32_e32 v18, v32, v18
	v_add_f32_e32 v12, v35, v12
	v_mul_f32_e32 v14, 0x3f4a47b2, v14
	v_mul_f32_e32 v15, 0x3f4a47b2, v15
	;; [unrolled: 1-line block ×6, first 2 shown]
	v_fmac_f32_e32 v44, 0xbf955555, v21
	v_mov_b32_e32 v21, v9
	v_mul_f32_e32 v36, 0xbf5ff5aa, v13
	v_mul_f32_e32 v43, 0xbf5ff5aa, v16
	v_fmac_f32_e32 v21, 0xbf955555, v23
	v_fma_f32 v23, v28, s4, -v24
	v_fma_f32 v24, v29, s4, -v25
	;; [unrolled: 1-line block ×3, first 2 shown]
	v_fmac_f32_e32 v14, 0x3d64c772, v19
	v_fma_f32 v19, v29, s1, -v15
	v_fmac_f32_e32 v15, 0x3d64c772, v22
	v_fma_f32 v22, v13, s0, -v32
	v_fma_f32 v28, v16, s0, -v35
	v_fmac_f32_e32 v32, 0xbeae86e6, v17
	v_fmac_f32_e32 v35, 0xbeae86e6, v20
	v_fma_f32 v29, v17, s5, -v36
	v_fma_f32 v20, v20, s5, -v43
	v_add_f32_e32 v23, v23, v44
	v_add_f32_e32 v24, v24, v21
	v_fmac_f32_e32 v22, 0xbee1c552, v18
	v_fmac_f32_e32 v28, 0xbee1c552, v12
	v_add_f32_e32 v36, v14, v44
	v_add_f32_e32 v43, v15, v21
	;; [unrolled: 1-line block ×4, first 2 shown]
	v_fmac_f32_e32 v32, 0xbee1c552, v18
	v_fmac_f32_e32 v35, 0xbee1c552, v12
	;; [unrolled: 1-line block ×4, first 2 shown]
	v_sub_f32_e32 v16, v23, v28
	v_add_f32_e32 v17, v22, v24
	v_add_f32_e32 v18, v28, v23
	v_sub_f32_e32 v19, v24, v22
	v_add_f32_e32 v24, v33, v31
	v_sub_f32_e32 v28, v33, v31
	v_add_f32_e32 v31, v38, v27
	v_add_f32_e32 v12, v35, v36
	v_sub_f32_e32 v13, v43, v32
	v_add_f32_e32 v14, v20, v25
	v_sub_f32_e32 v20, v25, v20
	v_sub_f32_e32 v22, v36, v35
	v_add_f32_e32 v23, v32, v43
	v_add_f32_e32 v25, v37, v34
	;; [unrolled: 1-line block ×5, first 2 shown]
	v_sub_f32_e32 v15, v21, v29
	v_add_f32_e32 v21, v29, v21
	v_sub_f32_e32 v29, v37, v34
	v_sub_f32_e32 v27, v38, v27
	v_add_f32_e32 v34, v41, v26
	v_add_f32_e32 v37, v32, v25
	v_sub_f32_e32 v38, v31, v24
	v_sub_f32_e32 v24, v24, v33
	;; [unrolled: 1-line block ×3, first 2 shown]
	v_add_f32_e32 v33, v33, v36
	v_sub_f32_e32 v30, v39, v30
	v_sub_f32_e32 v35, v42, v40
	;; [unrolled: 1-line block ×6, first 2 shown]
	v_add_f32_e32 v34, v34, v37
	v_add_f32_e32 v10, v10, v33
	;; [unrolled: 1-line block ×4, first 2 shown]
	v_sub_f32_e32 v42, v35, v27
	v_sub_f32_e32 v43, v26, v30
	;; [unrolled: 1-line block ×4, first 2 shown]
	v_add_f32_e32 v11, v11, v34
	v_mov_b32_e32 v44, v10
	v_sub_f32_e32 v35, v28, v35
	v_sub_f32_e32 v26, v29, v26
	v_add_f32_e32 v28, v40, v28
	v_add_f32_e32 v29, v41, v29
	v_mul_f32_e32 v24, 0x3f4a47b2, v24
	v_mul_f32_e32 v25, 0x3f4a47b2, v25
	;; [unrolled: 1-line block ×8, first 2 shown]
	v_fmac_f32_e32 v44, 0xbf955555, v33
	v_mov_b32_e32 v33, v11
	v_fmac_f32_e32 v33, 0xbf955555, v34
	v_fma_f32 v34, v38, s4, -v36
	v_fma_f32 v36, v39, s4, -v37
	;; [unrolled: 1-line block ×3, first 2 shown]
	v_fmac_f32_e32 v24, 0x3d64c772, v31
	v_fma_f32 v31, v39, s1, -v25
	v_fmac_f32_e32 v25, 0x3d64c772, v32
	v_fma_f32 v32, v27, s0, -v40
	;; [unrolled: 2-line block ×4, first 2 shown]
	v_fma_f32 v38, v26, s5, -v43
	v_add_f32_e32 v39, v24, v44
	v_add_f32_e32 v42, v25, v33
	;; [unrolled: 1-line block ×6, first 2 shown]
	v_fmac_f32_e32 v40, 0xbee1c552, v28
	v_fmac_f32_e32 v41, 0xbee1c552, v29
	;; [unrolled: 1-line block ×6, first 2 shown]
	v_add_f32_e32 v24, v41, v39
	v_sub_f32_e32 v25, v42, v40
	v_add_f32_e32 v26, v38, v37
	v_sub_f32_e32 v27, v33, v35
	v_sub_f32_e32 v28, v34, v30
	v_add_f32_e32 v29, v32, v36
	v_add_f32_e32 v30, v30, v34
	v_sub_f32_e32 v31, v36, v32
	v_sub_f32_e32 v32, v37, v38
	v_add_f32_e32 v33, v35, v33
	v_sub_f32_e32 v34, v39, v41
	v_add_f32_e32 v35, v40, v42
	ds_write_b64 v138, v[12:13] offset:2016
	ds_write_b64 v138, v[14:15] offset:4032
	;; [unrolled: 1-line block ×6, first 2 shown]
	ds_write2_b64 v138, v[8:9], v[10:11] offset1:126
	ds_write_b64 v138, v[24:25] offset:3024
	ds_write_b64 v138, v[26:27] offset:5040
	;; [unrolled: 1-line block ×6, first 2 shown]
	s_waitcnt lgkmcnt(0)
	s_barrier
	ds_read2_b64 v[8:11], v138 offset1:126
	v_mad_u64_u32 v[12:13], s[0:1], s11, v112, v[1:2]
	s_mov_b32 s0, 0x5bb804a5
	s_mov_b32 s1, 0x3f429372
	s_waitcnt lgkmcnt(0)
	v_mul_f32_e32 v1, v124, v9
	v_fmac_f32_e32 v1, v123, v8
	v_cvt_f64_f32_e32 v[13:14], v1
	v_mul_f32_e32 v1, v124, v8
	v_mad_u64_u32 v[16:17], s[4:5], s8, v137, 0
	v_mul_f64 v[13:14], v[13:14], s[0:1]
	v_fma_f32 v1, v123, v9, -v1
	v_cvt_f64_f32_e32 v[8:9], v1
	v_mov_b32_e32 v1, v12
	v_mov_b32_e32 v12, v17
	v_lshlrev_b64 v[0:1], 3, v[0:1]
	v_mul_f64 v[8:9], v[8:9], s[0:1]
	v_add_co_u32_e32 v20, vcc, s2, v0
	v_mad_u64_u32 v[17:18], s[4:5], s9, v137, v[12:13]
	v_cvt_f32_f64_e32 v18, v[13:14]
	ds_read2_b64 v[12:15], v7 offset0:116 offset1:242
	s_mul_i32 s2, s9, 0x1b90
	v_cvt_f32_f64_e32 v19, v[8:9]
	v_mov_b32_e32 v9, s3
	v_addc_co_u32_e32 v9, vcc, v9, v1, vcc
	s_waitcnt lgkmcnt(0)
	v_mul_f32_e32 v7, v122, v15
	v_fmac_f32_e32 v7, v121, v14
	v_mul_f32_e32 v14, v122, v14
	v_fma_f32 v14, v121, v15, -v14
	v_cvt_f64_f32_e32 v[7:8], v7
	v_cvt_f64_f32_e32 v[14:15], v14
	s_mul_hi_u32 s3, s8, 0x1b90
	s_add_i32 s2, s3, s2
	v_mul_f64 v[0:1], v[7:8], s[0:1]
	v_mul_f64 v[7:8], v[14:15], s[0:1]
	v_lshlrev_b64 v[14:15], 3, v[16:17]
	s_mul_i32 s3, s8, 0x1b90
	v_add_co_u32_e32 v14, vcc, v20, v14
	v_addc_co_u32_e32 v15, vcc, v9, v15, vcc
	v_cvt_f32_f64_e32 v0, v[0:1]
	v_cvt_f32_f64_e32 v1, v[7:8]
	v_mul_f32_e32 v7, v118, v11
	v_mul_f32_e32 v9, v118, v10
	v_fmac_f32_e32 v7, v117, v10
	v_fma_f32 v9, v117, v11, -v9
	v_cvt_f64_f32_e32 v[7:8], v7
	v_cvt_f64_f32_e32 v[9:10], v9
	global_store_dwordx2 v[14:15], v[18:19], off
	v_mov_b32_e32 v11, s2
	v_mul_f64 v[7:8], v[7:8], s[0:1]
	v_mul_f64 v[9:10], v[9:10], s[0:1]
	v_add_co_u32_e32 v18, vcc, s3, v14
	v_addc_co_u32_e32 v19, vcc, v15, v11, vcc
	global_store_dwordx2 v[18:19], v[0:1], off
	s_mul_hi_u32 s5, s8, 0xffffe860
	v_cvt_f32_f64_e32 v0, v[7:8]
	v_cvt_f32_f64_e32 v1, v[9:10]
	ds_read2_b64 v[6:9], v6 offset0:112 offset1:238
	ds_read2_b64 v[14:17], v5 offset0:124 offset1:250
	s_mul_i32 s4, s9, 0xffffe860
	s_sub_i32 s5, s5, s8
	s_add_i32 s4, s5, s4
	s_waitcnt lgkmcnt(1)
	v_mul_f32_e32 v10, v114, v7
	v_fmac_f32_e32 v10, v113, v6
	v_cvt_f64_f32_e32 v[10:11], v10
	v_mul_f32_e32 v6, v114, v6
	v_fma_f32 v6, v113, v7, -v6
	v_cvt_f64_f32_e32 v[6:7], v6
	v_mul_f64 v[10:11], v[10:11], s[0:1]
	s_mul_i32 s5, s8, 0xffffe860
	v_mov_b32_e32 v20, s4
	v_mul_f64 v[6:7], v[6:7], s[0:1]
	v_add_co_u32_e32 v18, vcc, s5, v18
	v_addc_co_u32_e32 v19, vcc, v19, v20, vcc
	global_store_dwordx2 v[18:19], v[0:1], off
	s_waitcnt lgkmcnt(0)
	v_mul_f32_e32 v0, v120, v15
	v_fmac_f32_e32 v0, v119, v14
	v_cvt_f64_f32_e32 v[0:1], v0
	v_cvt_f32_f64_e32 v5, v[10:11]
	v_mul_f32_e32 v10, v120, v14
	v_fma_f32 v10, v119, v15, -v10
	v_cvt_f32_f64_e32 v6, v[6:7]
	v_mul_f64 v[0:1], v[0:1], s[0:1]
	v_cvt_f64_f32_e32 v[10:11], v10
	v_mov_b32_e32 v7, s2
	v_add_co_u32_e32 v14, vcc, s3, v18
	v_addc_co_u32_e32 v15, vcc, v19, v7, vcc
	global_store_dwordx2 v[14:15], v[5:6], off
	v_mul_f64 v[5:6], v[10:11], s[0:1]
	v_cvt_f32_f64_e32 v0, v[0:1]
	v_mul_f32_e32 v1, v111, v9
	v_fmac_f32_e32 v1, v110, v8
	v_cvt_f64_f32_e32 v[10:11], v1
	v_mul_f32_e32 v1, v111, v8
	v_fma_f32 v1, v110, v9, -v1
	v_cvt_f64_f32_e32 v[7:8], v1
	v_cvt_f32_f64_e32 v1, v[5:6]
	v_mov_b32_e32 v18, s4
	v_add_co_u32_e32 v9, vcc, s5, v14
	v_mul_f64 v[5:6], v[10:11], s[0:1]
	v_addc_co_u32_e32 v10, vcc, v15, v18, vcc
	global_store_dwordx2 v[9:10], v[0:1], off
	v_mul_f32_e32 v0, v109, v17
	v_mul_f64 v[7:8], v[7:8], s[0:1]
	v_fmac_f32_e32 v0, v108, v16
	v_cvt_f64_f32_e32 v[0:1], v0
	v_cvt_f32_f64_e32 v14, v[5:6]
	v_mul_f32_e32 v5, v109, v16
	v_fma_f32 v5, v108, v17, -v5
	v_mul_f64 v[0:1], v[0:1], s[0:1]
	v_cvt_f64_f32_e32 v[16:17], v5
	v_cvt_f32_f64_e32 v15, v[7:8]
	ds_read2_b64 v[4:7], v4 offset0:108 offset1:234
	v_mov_b32_e32 v11, s2
	v_add_co_u32_e32 v8, vcc, s3, v9
	v_addc_co_u32_e32 v9, vcc, v10, v11, vcc
	v_mul_f64 v[10:11], v[16:17], s[0:1]
	v_cvt_f32_f64_e32 v0, v[0:1]
	s_waitcnt lgkmcnt(0)
	v_mul_f32_e32 v1, v116, v5
	v_fmac_f32_e32 v1, v115, v4
	global_store_dwordx2 v[8:9], v[14:15], off
	v_cvt_f64_f32_e32 v[14:15], v1
	v_mul_f32_e32 v1, v116, v4
	v_fma_f32 v1, v115, v5, -v1
	v_cvt_f64_f32_e32 v[4:5], v1
	v_cvt_f32_f64_e32 v1, v[10:11]
	v_mov_b32_e32 v10, s4
	v_add_co_u32_e32 v16, vcc, s5, v8
	v_mul_f64 v[14:15], v[14:15], s[0:1]
	v_mul_f64 v[4:5], v[4:5], s[0:1]
	v_addc_co_u32_e32 v17, vcc, v9, v10, vcc
	ds_read2_b64 v[8:11], v3 offset0:120 offset1:246
	global_store_dwordx2 v[16:17], v[0:1], off
	v_cvt_f32_f64_e32 v0, v[14:15]
	s_waitcnt lgkmcnt(0)
	v_mul_f32_e32 v3, v107, v9
	v_fmac_f32_e32 v3, v106, v8
	v_mul_f32_e32 v8, v107, v8
	v_fma_f32 v8, v106, v9, -v8
	v_cvt_f32_f64_e32 v1, v[4:5]
	v_cvt_f64_f32_e32 v[3:4], v3
	v_cvt_f64_f32_e32 v[8:9], v8
	v_mov_b32_e32 v5, s2
	v_add_co_u32_e32 v14, vcc, s3, v16
	v_addc_co_u32_e32 v15, vcc, v17, v5, vcc
	global_store_dwordx2 v[14:15], v[0:1], off
	v_mul_f64 v[0:1], v[3:4], s[0:1]
	v_mul_f64 v[3:4], v[8:9], s[0:1]
	v_mul_f32_e32 v5, v105, v7
	v_fmac_f32_e32 v5, v104, v6
	v_cvt_f64_f32_e32 v[8:9], v5
	v_mul_f32_e32 v5, v105, v6
	v_fma_f32 v5, v104, v7, -v5
	v_cvt_f64_f32_e32 v[5:6], v5
	v_cvt_f32_f64_e32 v0, v[0:1]
	v_cvt_f32_f64_e32 v1, v[3:4]
	v_mul_f64 v[3:4], v[8:9], s[0:1]
	v_mul_f64 v[5:6], v[5:6], s[0:1]
	v_mov_b32_e32 v8, s4
	v_add_co_u32_e32 v7, vcc, s5, v14
	v_addc_co_u32_e32 v8, vcc, v15, v8, vcc
	global_store_dwordx2 v[7:8], v[0:1], off
	v_mul_f32_e32 v0, v103, v11
	v_fmac_f32_e32 v0, v102, v10
	v_cvt_f64_f32_e32 v[14:15], v0
	v_mul_f32_e32 v0, v103, v10
	v_fma_f32 v0, v102, v11, -v0
	v_cvt_f32_f64_e32 v4, v[3:4]
	v_cvt_f32_f64_e32 v5, v[5:6]
	v_cvt_f64_f32_e32 v[9:10], v0
	ds_read2_b64 v[0:3], v2 offset0:104 offset1:230
	v_mov_b32_e32 v16, s2
	v_add_co_u32_e32 v6, vcc, s3, v7
	v_addc_co_u32_e32 v7, vcc, v8, v16, vcc
	global_store_dwordx2 v[6:7], v[4:5], off
	v_mul_f64 v[4:5], v[14:15], s[0:1]
	v_mul_f64 v[8:9], v[9:10], s[0:1]
	s_waitcnt lgkmcnt(0)
	v_mul_f32_e32 v10, v101, v1
	v_fmac_f32_e32 v10, v100, v0
	v_mul_f32_e32 v0, v101, v0
	v_fma_f32 v0, v100, v1, -v0
	v_cvt_f64_f32_e32 v[10:11], v10
	v_cvt_f64_f32_e32 v[0:1], v0
	v_cvt_f32_f64_e32 v4, v[4:5]
	v_cvt_f32_f64_e32 v5, v[8:9]
	v_mul_f64 v[8:9], v[10:11], s[0:1]
	v_mul_f64 v[0:1], v[0:1], s[0:1]
	v_mov_b32_e32 v10, s4
	v_add_co_u32_e32 v6, vcc, s5, v6
	v_addc_co_u32_e32 v7, vcc, v7, v10, vcc
	global_store_dwordx2 v[6:7], v[4:5], off
	v_cvt_f32_f64_e32 v4, v[8:9]
	v_cvt_f32_f64_e32 v5, v[0:1]
	v_mul_f32_e32 v0, v99, v13
	v_mul_f32_e32 v8, v99, v12
	v_fmac_f32_e32 v0, v98, v12
	v_fma_f32 v8, v98, v13, -v8
	v_cvt_f64_f32_e32 v[0:1], v0
	v_cvt_f64_f32_e32 v[8:9], v8
	v_mov_b32_e32 v10, s2
	v_add_co_u32_e32 v6, vcc, s3, v6
	v_addc_co_u32_e32 v7, vcc, v7, v10, vcc
	global_store_dwordx2 v[6:7], v[4:5], off
	v_mul_f64 v[0:1], v[0:1], s[0:1]
	v_mul_f64 v[4:5], v[8:9], s[0:1]
	v_mul_f32_e32 v8, v97, v3
	v_fmac_f32_e32 v8, v96, v2
	v_mul_f32_e32 v2, v97, v2
	v_fma_f32 v2, v96, v3, -v2
	v_cvt_f64_f32_e32 v[8:9], v8
	v_cvt_f64_f32_e32 v[2:3], v2
	v_cvt_f32_f64_e32 v0, v[0:1]
	v_cvt_f32_f64_e32 v1, v[4:5]
	v_mul_f64 v[4:5], v[8:9], s[0:1]
	v_mul_f64 v[2:3], v[2:3], s[0:1]
	v_mov_b32_e32 v8, s4
	v_add_co_u32_e32 v6, vcc, s5, v6
	v_addc_co_u32_e32 v7, vcc, v7, v8, vcc
	global_store_dwordx2 v[6:7], v[0:1], off
	v_cvt_f32_f64_e32 v0, v[4:5]
	v_cvt_f32_f64_e32 v1, v[2:3]
	v_mov_b32_e32 v3, s2
	v_add_co_u32_e32 v2, vcc, s3, v6
	v_addc_co_u32_e32 v3, vcc, v7, v3, vcc
	global_store_dwordx2 v[2:3], v[0:1], off
.LBB0_18:
	s_endpgm
	.section	.rodata,"a",@progbits
	.p2align	6, 0x0
	.amdhsa_kernel bluestein_single_fwd_len1764_dim1_sp_op_CI_CI
		.amdhsa_group_segment_fixed_size 14112
		.amdhsa_private_segment_fixed_size 0
		.amdhsa_kernarg_size 104
		.amdhsa_user_sgpr_count 6
		.amdhsa_user_sgpr_private_segment_buffer 1
		.amdhsa_user_sgpr_dispatch_ptr 0
		.amdhsa_user_sgpr_queue_ptr 0
		.amdhsa_user_sgpr_kernarg_segment_ptr 1
		.amdhsa_user_sgpr_dispatch_id 0
		.amdhsa_user_sgpr_flat_scratch_init 0
		.amdhsa_user_sgpr_private_segment_size 0
		.amdhsa_uses_dynamic_stack 0
		.amdhsa_system_sgpr_private_segment_wavefront_offset 0
		.amdhsa_system_sgpr_workgroup_id_x 1
		.amdhsa_system_sgpr_workgroup_id_y 0
		.amdhsa_system_sgpr_workgroup_id_z 0
		.amdhsa_system_sgpr_workgroup_info 0
		.amdhsa_system_vgpr_workitem_id 0
		.amdhsa_next_free_vgpr 187
		.amdhsa_next_free_sgpr 20
		.amdhsa_reserve_vcc 1
		.amdhsa_reserve_flat_scratch 0
		.amdhsa_float_round_mode_32 0
		.amdhsa_float_round_mode_16_64 0
		.amdhsa_float_denorm_mode_32 3
		.amdhsa_float_denorm_mode_16_64 3
		.amdhsa_dx10_clamp 1
		.amdhsa_ieee_mode 1
		.amdhsa_fp16_overflow 0
		.amdhsa_exception_fp_ieee_invalid_op 0
		.amdhsa_exception_fp_denorm_src 0
		.amdhsa_exception_fp_ieee_div_zero 0
		.amdhsa_exception_fp_ieee_overflow 0
		.amdhsa_exception_fp_ieee_underflow 0
		.amdhsa_exception_fp_ieee_inexact 0
		.amdhsa_exception_int_div_zero 0
	.end_amdhsa_kernel
	.text
.Lfunc_end0:
	.size	bluestein_single_fwd_len1764_dim1_sp_op_CI_CI, .Lfunc_end0-bluestein_single_fwd_len1764_dim1_sp_op_CI_CI
                                        ; -- End function
	.section	.AMDGPU.csdata,"",@progbits
; Kernel info:
; codeLenInByte = 14268
; NumSgprs: 24
; NumVgprs: 187
; ScratchSize: 0
; MemoryBound: 0
; FloatMode: 240
; IeeeMode: 1
; LDSByteSize: 14112 bytes/workgroup (compile time only)
; SGPRBlocks: 2
; VGPRBlocks: 46
; NumSGPRsForWavesPerEU: 24
; NumVGPRsForWavesPerEU: 187
; Occupancy: 1
; WaveLimiterHint : 1
; COMPUTE_PGM_RSRC2:SCRATCH_EN: 0
; COMPUTE_PGM_RSRC2:USER_SGPR: 6
; COMPUTE_PGM_RSRC2:TRAP_HANDLER: 0
; COMPUTE_PGM_RSRC2:TGID_X_EN: 1
; COMPUTE_PGM_RSRC2:TGID_Y_EN: 0
; COMPUTE_PGM_RSRC2:TGID_Z_EN: 0
; COMPUTE_PGM_RSRC2:TIDIG_COMP_CNT: 0
	.type	__hip_cuid_cac5051641a4b6bc,@object ; @__hip_cuid_cac5051641a4b6bc
	.section	.bss,"aw",@nobits
	.globl	__hip_cuid_cac5051641a4b6bc
__hip_cuid_cac5051641a4b6bc:
	.byte	0                               ; 0x0
	.size	__hip_cuid_cac5051641a4b6bc, 1

	.ident	"AMD clang version 19.0.0git (https://github.com/RadeonOpenCompute/llvm-project roc-6.4.0 25133 c7fe45cf4b819c5991fe208aaa96edf142730f1d)"
	.section	".note.GNU-stack","",@progbits
	.addrsig
	.addrsig_sym __hip_cuid_cac5051641a4b6bc
	.amdgpu_metadata
---
amdhsa.kernels:
  - .args:
      - .actual_access:  read_only
        .address_space:  global
        .offset:         0
        .size:           8
        .value_kind:     global_buffer
      - .actual_access:  read_only
        .address_space:  global
        .offset:         8
        .size:           8
        .value_kind:     global_buffer
      - .actual_access:  read_only
        .address_space:  global
        .offset:         16
        .size:           8
        .value_kind:     global_buffer
      - .actual_access:  read_only
        .address_space:  global
        .offset:         24
        .size:           8
        .value_kind:     global_buffer
      - .actual_access:  read_only
        .address_space:  global
        .offset:         32
        .size:           8
        .value_kind:     global_buffer
      - .offset:         40
        .size:           8
        .value_kind:     by_value
      - .address_space:  global
        .offset:         48
        .size:           8
        .value_kind:     global_buffer
      - .address_space:  global
        .offset:         56
        .size:           8
        .value_kind:     global_buffer
      - .address_space:  global
        .offset:         64
        .size:           8
        .value_kind:     global_buffer
      - .address_space:  global
        .offset:         72
        .size:           8
        .value_kind:     global_buffer
      - .offset:         80
        .size:           4
        .value_kind:     by_value
      - .address_space:  global
        .offset:         88
        .size:           8
        .value_kind:     global_buffer
      - .address_space:  global
        .offset:         96
        .size:           8
        .value_kind:     global_buffer
    .group_segment_fixed_size: 14112
    .kernarg_segment_align: 8
    .kernarg_segment_size: 104
    .language:       OpenCL C
    .language_version:
      - 2
      - 0
    .max_flat_workgroup_size: 126
    .name:           bluestein_single_fwd_len1764_dim1_sp_op_CI_CI
    .private_segment_fixed_size: 0
    .sgpr_count:     24
    .sgpr_spill_count: 0
    .symbol:         bluestein_single_fwd_len1764_dim1_sp_op_CI_CI.kd
    .uniform_work_group_size: 1
    .uses_dynamic_stack: false
    .vgpr_count:     187
    .vgpr_spill_count: 0
    .wavefront_size: 64
amdhsa.target:   amdgcn-amd-amdhsa--gfx906
amdhsa.version:
  - 1
  - 2
...

	.end_amdgpu_metadata
